;; amdgpu-corpus repo=ROCm/rocFFT kind=compiled arch=gfx90a opt=O3
	.text
	.amdgcn_target "amdgcn-amd-amdhsa--gfx90a"
	.amdhsa_code_object_version 6
	.protected	bluestein_single_fwd_len4050_dim1_dp_op_CI_CI ; -- Begin function bluestein_single_fwd_len4050_dim1_dp_op_CI_CI
	.globl	bluestein_single_fwd_len4050_dim1_dp_op_CI_CI
	.p2align	8
	.type	bluestein_single_fwd_len4050_dim1_dp_op_CI_CI,@function
bluestein_single_fwd_len4050_dim1_dp_op_CI_CI: ; @bluestein_single_fwd_len4050_dim1_dp_op_CI_CI
; %bb.0:
	s_load_dwordx4 s[12:15], s[4:5], 0x28
	s_mov_b64 s[38:39], s[2:3]
	s_mov_b64 s[36:37], s[0:1]
	v_mul_u32_u24_e32 v1, 0x1e6, v0
	s_add_u32 s36, s36, s7
	v_add_u32_sdwa v2, s6, v1 dst_sel:DWORD dst_unused:UNUSED_PAD src0_sel:DWORD src1_sel:WORD_1
	v_mov_b32_e32 v3, 0
	s_addc_u32 s37, s37, 0
	s_waitcnt lgkmcnt(0)
	v_cmp_gt_u64_e32 vcc, s[12:13], v[2:3]
	s_and_saveexec_b64 s[0:1], vcc
	s_cbranch_execz .LBB0_2
; %bb.1:
	s_load_dwordx4 s[8:11], s[4:5], 0x0
	s_load_dwordx4 s[20:23], s[4:5], 0x18
	s_load_dwordx2 s[12:13], s[4:5], 0x38
	s_movk_i32 s16, 0x87
	v_mul_lo_u16_sdwa v1, v1, s16 dst_sel:DWORD dst_unused:UNUSED_PAD src0_sel:WORD_1 src1_sel:DWORD
	v_sub_u16_e32 v209, v0, v1
	s_waitcnt lgkmcnt(0)
	s_load_dwordx4 s[0:3], s[22:23], 0x0
	v_lshlrev_b32_e32 v187, 4, v209
	s_movk_i32 s27, 0x1000
	v_mov_b32_e32 v186, 0x1950
	s_movk_i32 s28, 0x3000
	s_waitcnt lgkmcnt(0)
	v_mad_u64_u32 v[4:5], s[4:5], s2, v2, 0
	v_mov_b32_e32 v0, v5
	v_mad_u64_u32 v[0:1], s[2:3], s3, v2, v[0:1]
	v_mov_b32_e32 v5, v0
	buffer_store_dword v4, off, s[36:39], 0 offset:516 ; 4-byte Folded Spill
	s_nop 0
	buffer_store_dword v5, off, s[36:39], 0 offset:520 ; 4-byte Folded Spill
	global_load_dwordx4 v[10:13], v187, s[8:9]
	s_load_dwordx4 s[4:7], s[20:21], 0x0
	s_movk_i32 s29, 0x2000
	s_movk_i32 s26, 0x5000
	v_mov_b32_e32 v30, 0xffff24a0
                                        ; kill: killed $sgpr8_sgpr9
	s_mov_b32 s17, 0xbfee6f0e
	s_waitcnt lgkmcnt(0)
	v_mad_u64_u32 v[0:1], s[2:3], s6, v2, 0
	v_mov_b32_e32 v4, v1
	s_mov_b32 s19, 0xbfe2cf23
	s_mov_b32 s24, 0x9b97f4a8
	;; [unrolled: 1-line block ×6, first 2 shown]
	v_mov_b32_e32 v240, v209
	s_movk_i32 s30, 0x96
	v_mad_u64_u32 v[2:3], s[2:3], s7, v2, v[4:5]
	v_mov_b32_e32 v1, v2
	v_mad_u64_u32 v[2:3], s[2:3], s4, v209, 0
	v_mov_b32_e32 v4, v3
	v_mad_u64_u32 v[4:5], s[2:3], s5, v209, v[4:5]
	v_lshlrev_b64 v[0:1], 4, v[0:1]
	v_mov_b32_e32 v3, v4
	v_add_co_u32_e32 v4, vcc, s14, v0
	v_mov_b32_e32 v0, s15
	v_addc_co_u32_e32 v5, vcc, v0, v1, vcc
	v_lshlrev_b64 v[0:1], 4, v[2:3]
	v_add_co_u32_e32 v8, vcc, v4, v0
	v_addc_co_u32_e32 v9, vcc, v5, v1, vcc
	global_load_dwordx4 v[0:3], v[8:9], off
	s_waitcnt vmcnt(1)
	buffer_store_dword v10, off, s[36:39], 0 offset:12 ; 4-byte Folded Spill
	s_nop 0
	buffer_store_dword v11, off, s[36:39], 0 offset:16 ; 4-byte Folded Spill
	buffer_store_dword v12, off, s[36:39], 0 offset:20 ; 4-byte Folded Spill
	;; [unrolled: 1-line block ×3, first 2 shown]
	v_add_co_u32_e32 v252, vcc, s8, v187
	v_mov_b32_e32 v4, s9
	v_addc_co_u32_e32 v253, vcc, 0, v4, vcc
	s_movk_i32 s2, 0x195
	v_add_co_u32_e32 v190, vcc, s2, v209
	v_addc_co_u32_e64 v193, s[2:3], 0, 0, vcc
	s_mov_b32 s14, 0x372fe950
	s_mov_b32 s15, 0x3fd3c6ef
	;; [unrolled: 1-line block ×3, first 2 shown]
	s_waitcnt vmcnt(4)
	v_mul_f64 v[4:5], v[2:3], v[12:13]
	v_fmac_f64_e32 v[4:5], v[0:1], v[10:11]
	v_mul_f64 v[0:1], v[0:1], v[12:13]
	v_fma_f64 v[6:7], v[2:3], v[10:11], -v[0:1]
	v_add_co_u32_e32 v2, vcc, s27, v252
	v_addc_co_u32_e32 v3, vcc, 0, v253, vcc
	global_load_dwordx4 v[10:13], v[2:3], off offset:2384
	v_mad_u64_u32 v[0:1], s[2:3], s4, v186, v[8:9]
	s_mul_i32 s2, s5, 0x1950
	v_add_u32_e32 v1, s2, v1
	ds_write_b128 v187, v[4:7]
	global_load_dwordx4 v[4:7], v[0:1], off
	s_movk_i32 s3, 0x32a
	v_add_co_u32_e32 v242, vcc, s3, v209
	v_mad_u64_u32 v[0:1], s[6:7], s4, v186, v[0:1]
	v_add_u32_e32 v1, s2, v1
	s_movk_i32 s3, 0x4bf
                                        ; kill: killed $vgpr2 killed $vgpr3
	s_waitcnt vmcnt(1)
	buffer_store_dword v10, off, s[36:39], 0 offset:28 ; 4-byte Folded Spill
	s_nop 0
	buffer_store_dword v11, off, s[36:39], 0 offset:32 ; 4-byte Folded Spill
	buffer_store_dword v12, off, s[36:39], 0 offset:36 ; 4-byte Folded Spill
	;; [unrolled: 1-line block ×3, first 2 shown]
	s_waitcnt vmcnt(4)
	v_mul_f64 v[8:9], v[6:7], v[12:13]
	v_fmac_f64_e32 v[8:9], v[4:5], v[10:11]
	v_mul_f64 v[4:5], v[4:5], v[12:13]
	v_fma_f64 v[10:11], v[6:7], v[10:11], -v[4:5]
	ds_write_b128 v187, v[8:11] offset:6480
	v_add_co_u32_e32 v10, vcc, s28, v252
	v_addc_co_u32_e32 v11, vcc, 0, v253, vcc
	global_load_dwordx4 v[14:17], v[10:11], off offset:672
	global_load_dwordx4 v[4:7], v[0:1], off
	v_add_co_u32_e32 v241, vcc, s3, v209
	s_movk_i32 s3, 0x4000
	v_mad_u64_u32 v[0:1], s[6:7], s4, v186, v[0:1]
	v_add_u32_e32 v1, s2, v1
                                        ; kill: killed $vgpr10 killed $vgpr11
	s_waitcnt vmcnt(1)
	buffer_store_dword v14, off, s[36:39], 0 offset:76 ; 4-byte Folded Spill
	s_nop 0
	buffer_store_dword v15, off, s[36:39], 0 offset:80 ; 4-byte Folded Spill
	buffer_store_dword v16, off, s[36:39], 0 offset:84 ; 4-byte Folded Spill
	buffer_store_dword v17, off, s[36:39], 0 offset:88 ; 4-byte Folded Spill
	s_waitcnt vmcnt(4)
	v_mul_f64 v[12:13], v[6:7], v[16:17]
	v_fmac_f64_e32 v[12:13], v[4:5], v[14:15]
	v_mul_f64 v[4:5], v[4:5], v[16:17]
	v_fma_f64 v[14:15], v[6:7], v[14:15], -v[4:5]
	v_add_co_u32_e32 v6, vcc, s3, v252
	v_addc_co_u32_e32 v7, vcc, 0, v253, vcc
	global_load_dwordx4 v[18:21], v[6:7], off offset:3056
	ds_write_b128 v187, v[12:15] offset:12960
	global_load_dwordx4 v[12:15], v[0:1], off
	s_movk_i32 s3, 0x6000
	v_add_co_u32_e32 v8, vcc, s3, v252
	v_addc_co_u32_e32 v9, vcc, 0, v253, vcc
	v_mad_u64_u32 v[0:1], s[6:7], s4, v186, v[0:1]
	v_add_u32_e32 v1, s2, v1
	s_movk_i32 s3, 0x7000
                                        ; kill: killed $vgpr8 killed $vgpr9
	s_waitcnt vmcnt(1)
	buffer_store_dword v18, off, s[36:39], 0 offset:108 ; 4-byte Folded Spill
	s_nop 0
	buffer_store_dword v19, off, s[36:39], 0 offset:112 ; 4-byte Folded Spill
	buffer_store_dword v20, off, s[36:39], 0 offset:116 ; 4-byte Folded Spill
	;; [unrolled: 1-line block ×3, first 2 shown]
	s_waitcnt vmcnt(4)
	v_mul_f64 v[16:17], v[14:15], v[20:21]
	v_mul_f64 v[4:5], v[12:13], v[20:21]
	v_fmac_f64_e32 v[16:17], v[12:13], v[18:19]
	v_fma_f64 v[18:19], v[14:15], v[18:19], -v[4:5]
	ds_write_b128 v187, v[16:19] offset:19440
	global_load_dwordx4 v[18:21], v[8:9], off offset:1344
	global_load_dwordx4 v[12:15], v[0:1], off
	v_mad_u64_u32 v[0:1], s[6:7], s4, v186, v[0:1]
	v_add_u32_e32 v1, s2, v1
	s_waitcnt vmcnt(1)
	buffer_store_dword v18, off, s[36:39], 0 offset:124 ; 4-byte Folded Spill
	s_nop 0
	buffer_store_dword v19, off, s[36:39], 0 offset:128 ; 4-byte Folded Spill
	buffer_store_dword v20, off, s[36:39], 0 offset:132 ; 4-byte Folded Spill
	;; [unrolled: 1-line block ×3, first 2 shown]
	s_waitcnt vmcnt(4)
	v_mul_f64 v[16:17], v[14:15], v[20:21]
	v_mul_f64 v[4:5], v[12:13], v[20:21]
	v_fmac_f64_e32 v[16:17], v[12:13], v[18:19]
	v_fma_f64 v[18:19], v[14:15], v[18:19], -v[4:5]
	v_add_co_u32_e32 v4, vcc, s3, v252
	v_addc_co_u32_e32 v5, vcc, 0, v253, vcc
	ds_write_b128 v187, v[16:19] offset:25920
	global_load_dwordx4 v[18:21], v[4:5], off offset:3728
	global_load_dwordx4 v[12:15], v[0:1], off
	s_mov_b32 s3, 0x9000
	v_mad_u64_u32 v[0:1], s[6:7], s4, v186, v[0:1]
	v_add_u32_e32 v1, s2, v1
	s_waitcnt vmcnt(1)
	buffer_store_dword v18, off, s[36:39], 0 offset:244 ; 4-byte Folded Spill
	s_nop 0
	buffer_store_dword v19, off, s[36:39], 0 offset:248 ; 4-byte Folded Spill
	buffer_store_dword v20, off, s[36:39], 0 offset:252 ; 4-byte Folded Spill
	;; [unrolled: 1-line block ×3, first 2 shown]
	s_waitcnt vmcnt(4)
	v_mul_f64 v[16:17], v[14:15], v[20:21]
	v_fmac_f64_e32 v[16:17], v[12:13], v[18:19]
	v_mul_f64 v[12:13], v[12:13], v[20:21]
	v_fma_f64 v[18:19], v[14:15], v[18:19], -v[12:13]
	ds_write_b128 v187, v[16:19] offset:32400
	v_add_co_u32_e32 v16, vcc, s3, v252
	v_addc_co_u32_e32 v17, vcc, 0, v253, vcc
	global_load_dwordx4 v[18:21], v[16:17], off offset:2016
	global_load_dwordx4 v[12:15], v[0:1], off
	s_mov_b32 s3, 0xb000
	v_mad_u64_u32 v[0:1], s[6:7], s4, v186, v[0:1]
	v_add_u32_e32 v1, s2, v1
	s_waitcnt vmcnt(1)
	buffer_store_dword v18, off, s[36:39], 0 offset:404 ; 4-byte Folded Spill
	s_nop 0
	buffer_store_dword v19, off, s[36:39], 0 offset:408 ; 4-byte Folded Spill
	buffer_store_dword v20, off, s[36:39], 0 offset:412 ; 4-byte Folded Spill
	;; [unrolled: 1-line block ×3, first 2 shown]
	s_waitcnt vmcnt(4)
	v_mul_f64 v[16:17], v[14:15], v[20:21]
	v_fmac_f64_e32 v[16:17], v[12:13], v[18:19]
	v_mul_f64 v[12:13], v[12:13], v[20:21]
	v_fma_f64 v[18:19], v[14:15], v[18:19], -v[12:13]
	ds_write_b128 v187, v[16:19] offset:38880
	v_add_co_u32_e32 v18, vcc, s3, v252
	v_addc_co_u32_e32 v19, vcc, 0, v253, vcc
	global_load_dwordx4 v[22:25], v[18:19], off offset:304
	global_load_dwordx4 v[12:15], v[0:1], off
	s_mov_b32 s3, 0xc000
	v_mad_u64_u32 v[16:17], s[6:7], s4, v186, v[0:1]
	v_add_co_u32_e32 v0, vcc, s3, v252
	v_addc_co_u32_e32 v1, vcc, 0, v253, vcc
	v_add_u32_e32 v17, s2, v17
	s_mov_b32 s3, 0xe000
                                        ; kill: killed $vgpr18 killed $vgpr19
	s_waitcnt vmcnt(1)
	buffer_store_dword v22, off, s[36:39], 0 offset:436 ; 4-byte Folded Spill
	s_nop 0
	buffer_store_dword v23, off, s[36:39], 0 offset:440 ; 4-byte Folded Spill
	buffer_store_dword v24, off, s[36:39], 0 offset:444 ; 4-byte Folded Spill
	;; [unrolled: 1-line block ×3, first 2 shown]
	s_waitcnt vmcnt(4)
	v_mul_f64 v[20:21], v[14:15], v[24:25]
	v_fmac_f64_e32 v[20:21], v[12:13], v[22:23]
	v_mul_f64 v[12:13], v[12:13], v[24:25]
	v_fma_f64 v[22:23], v[14:15], v[22:23], -v[12:13]
	ds_write_b128 v187, v[20:23] offset:45360
	global_load_dwordx4 v[22:25], v[0:1], off offset:2688
	global_load_dwordx4 v[12:15], v[16:17], off
	v_mad_u64_u32 v[16:17], s[6:7], s4, v186, v[16:17]
	v_add_u32_e32 v17, s2, v17
	s_waitcnt vmcnt(1)
	buffer_store_dword v22, off, s[36:39], 0 offset:468 ; 4-byte Folded Spill
	s_nop 0
	buffer_store_dword v23, off, s[36:39], 0 offset:472 ; 4-byte Folded Spill
	buffer_store_dword v24, off, s[36:39], 0 offset:476 ; 4-byte Folded Spill
	;; [unrolled: 1-line block ×3, first 2 shown]
	s_waitcnt vmcnt(4)
	v_mul_f64 v[20:21], v[14:15], v[24:25]
	v_fmac_f64_e32 v[20:21], v[12:13], v[22:23]
	v_mul_f64 v[12:13], v[12:13], v[24:25]
	v_fma_f64 v[22:23], v[14:15], v[22:23], -v[12:13]
	ds_write_b128 v187, v[20:23] offset:51840
	v_add_co_u32_e32 v20, vcc, s3, v252
	v_addc_co_u32_e32 v21, vcc, 0, v253, vcc
	global_load_dwordx4 v[24:27], v[20:21], off offset:976
	global_load_dwordx4 v[12:15], v[16:17], off
	s_mul_i32 s3, s5, 0xffff24a0
	s_sub_i32 s3, s3, s4
	v_add_co_u32_e32 v194, vcc, s16, v209
	s_movk_i32 s5, 0x21c
	v_addc_co_u32_e64 v196, s[6:7], 0, 0, vcc
	v_add_co_u32_e32 v191, vcc, s5, v209
	s_movk_i32 s5, 0x3b1
                                        ; kill: killed $vgpr20 killed $vgpr21
	s_waitcnt vmcnt(1)
	buffer_store_dword v24, off, s[36:39], 0 offset:532 ; 4-byte Folded Spill
	s_nop 0
	buffer_store_dword v25, off, s[36:39], 0 offset:536 ; 4-byte Folded Spill
	buffer_store_dword v26, off, s[36:39], 0 offset:540 ; 4-byte Folded Spill
	buffer_store_dword v27, off, s[36:39], 0 offset:544 ; 4-byte Folded Spill
	s_waitcnt vmcnt(4)
	v_mul_f64 v[22:23], v[14:15], v[26:27]
	v_fmac_f64_e32 v[22:23], v[12:13], v[24:25]
	v_mul_f64 v[12:13], v[12:13], v[26:27]
	v_fma_f64 v[24:25], v[14:15], v[24:25], -v[12:13]
	v_mov_b32_e32 v12, 0xffff24a0
	v_mad_u64_u32 v[16:17], s[6:7], s4, v12, v[16:17]
	ds_write_b128 v187, v[22:25] offset:58320
	v_add_u32_e32 v17, s3, v17
	global_load_dwordx4 v[12:15], v[16:17], off
	global_load_dwordx4 v[24:27], v187, s[8:9] offset:2160
	s_mov_b32 s8, 0x4755a5e
	s_mov_b32 s9, 0x3fe2cf23
	;; [unrolled: 1-line block ×3, first 2 shown]
	s_waitcnt vmcnt(0)
	buffer_store_dword v24, off, s[36:39], 0 offset:44 ; 4-byte Folded Spill
	s_nop 0
	buffer_store_dword v25, off, s[36:39], 0 offset:48 ; 4-byte Folded Spill
	buffer_store_dword v26, off, s[36:39], 0 offset:52 ; 4-byte Folded Spill
	;; [unrolled: 1-line block ×3, first 2 shown]
	v_mul_f64 v[22:23], v[14:15], v[26:27]
	v_fmac_f64_e32 v[22:23], v[12:13], v[24:25]
	v_mul_f64 v[12:13], v[12:13], v[26:27]
	v_mad_u64_u32 v[26:27], s[6:7], s4, v186, v[16:17]
	v_add_co_u32_e32 v16, vcc, s29, v252
	v_addc_co_u32_e32 v17, vcc, 0, v253, vcc
	global_load_dwordx4 v[32:35], v[16:17], off offset:448
	v_add_u32_e32 v27, s2, v27
	v_fma_f64 v[24:25], v[14:15], v[24:25], -v[12:13]
	global_load_dwordx4 v[12:15], v[26:27], off
	ds_write_b128 v187, v[22:25] offset:2160
	v_add_co_u32_e32 v243, vcc, s5, v209
	s_mov_b32 s5, 0x8000
                                        ; kill: killed $vgpr16 killed $vgpr17
	s_waitcnt vmcnt(1)
	buffer_store_dword v32, off, s[36:39], 0 offset:60 ; 4-byte Folded Spill
	s_nop 0
	buffer_store_dword v33, off, s[36:39], 0 offset:64 ; 4-byte Folded Spill
	buffer_store_dword v34, off, s[36:39], 0 offset:68 ; 4-byte Folded Spill
	;; [unrolled: 1-line block ×3, first 2 shown]
	s_waitcnt vmcnt(4)
	v_mul_f64 v[22:23], v[14:15], v[34:35]
	v_fmac_f64_e32 v[22:23], v[12:13], v[32:33]
	v_mul_f64 v[12:13], v[12:13], v[34:35]
	v_fma_f64 v[24:25], v[14:15], v[32:33], -v[12:13]
	ds_write_b128 v187, v[22:25] offset:8640
	v_mad_u64_u32 v[22:23], s[6:7], s4, v186, v[26:27]
	v_add_u32_e32 v23, s2, v23
	global_load_dwordx4 v[12:15], v[22:23], off
	global_load_dwordx4 v[24:27], v[10:11], off offset:2832
	s_waitcnt vmcnt(0)
	buffer_store_dword v24, off, s[36:39], 0 offset:92 ; 4-byte Folded Spill
	s_nop 0
	buffer_store_dword v25, off, s[36:39], 0 offset:96 ; 4-byte Folded Spill
	buffer_store_dword v26, off, s[36:39], 0 offset:100 ; 4-byte Folded Spill
	;; [unrolled: 1-line block ×3, first 2 shown]
	v_mul_f64 v[10:11], v[14:15], v[26:27]
	v_fmac_f64_e32 v[10:11], v[12:13], v[24:25]
	v_mul_f64 v[12:13], v[12:13], v[26:27]
	v_fma_f64 v[12:13], v[14:15], v[24:25], -v[12:13]
	v_add_co_u32_e32 v14, vcc, s26, v252
	v_addc_co_u32_e32 v15, vcc, 0, v253, vcc
	global_load_dwordx4 v[32:35], v[14:15], off offset:1120
	v_mad_u64_u32 v[26:27], s[6:7], s4, v186, v[22:23]
	v_add_u32_e32 v27, s2, v27
	ds_write_b128 v187, v[10:13] offset:15120
	global_load_dwordx4 v[10:13], v[26:27], off
	s_waitcnt vmcnt(1)
	buffer_store_dword v32, off, s[36:39], 0 offset:356 ; 4-byte Folded Spill
	s_nop 0
	buffer_store_dword v33, off, s[36:39], 0 offset:360 ; 4-byte Folded Spill
	buffer_store_dword v34, off, s[36:39], 0 offset:364 ; 4-byte Folded Spill
	;; [unrolled: 1-line block ×3, first 2 shown]
	s_waitcnt vmcnt(4)
	v_mul_f64 v[22:23], v[12:13], v[34:35]
	v_fmac_f64_e32 v[22:23], v[10:11], v[32:33]
	v_mul_f64 v[10:11], v[10:11], v[34:35]
	v_fma_f64 v[24:25], v[12:13], v[32:33], -v[10:11]
	ds_write_b128 v187, v[22:25] offset:21600
	v_mad_u64_u32 v[22:23], s[6:7], s4, v186, v[26:27]
	v_add_u32_e32 v23, s2, v23
	global_load_dwordx4 v[10:13], v[22:23], off
	global_load_dwordx4 v[24:27], v[8:9], off offset:3504
	s_waitcnt vmcnt(0)
	buffer_store_dword v24, off, s[36:39], 0 offset:292 ; 4-byte Folded Spill
	s_nop 0
	buffer_store_dword v25, off, s[36:39], 0 offset:296 ; 4-byte Folded Spill
	buffer_store_dword v26, off, s[36:39], 0 offset:300 ; 4-byte Folded Spill
	;; [unrolled: 1-line block ×3, first 2 shown]
	v_mul_f64 v[8:9], v[12:13], v[26:27]
	v_fmac_f64_e32 v[8:9], v[10:11], v[24:25]
	v_mul_f64 v[10:11], v[10:11], v[26:27]
	v_fma_f64 v[10:11], v[12:13], v[24:25], -v[10:11]
	v_add_co_u32_e32 v12, vcc, s5, v252
	v_addc_co_u32_e32 v13, vcc, 0, v253, vcc
	global_load_dwordx4 v[32:35], v[12:13], off offset:1792
	v_mad_u64_u32 v[26:27], s[6:7], s4, v186, v[22:23]
	v_add_u32_e32 v27, s2, v27
	ds_write_b128 v187, v[8:11] offset:28080
	global_load_dwordx4 v[8:11], v[26:27], off
	s_mov_b32 s5, 0xa000
	s_waitcnt vmcnt(1)
	buffer_store_dword v32, off, s[36:39], 0 offset:340 ; 4-byte Folded Spill
	s_nop 0
	buffer_store_dword v33, off, s[36:39], 0 offset:344 ; 4-byte Folded Spill
	buffer_store_dword v34, off, s[36:39], 0 offset:348 ; 4-byte Folded Spill
	;; [unrolled: 1-line block ×3, first 2 shown]
	s_waitcnt vmcnt(4)
	v_mul_f64 v[22:23], v[10:11], v[34:35]
	v_fmac_f64_e32 v[22:23], v[8:9], v[32:33]
	v_mul_f64 v[8:9], v[8:9], v[34:35]
	v_fma_f64 v[24:25], v[10:11], v[32:33], -v[8:9]
	v_add_co_u32_e32 v10, vcc, s5, v252
	v_addc_co_u32_e32 v11, vcc, 0, v253, vcc
	global_load_dwordx4 v[32:35], v[10:11], off offset:80
	v_mad_u64_u32 v[8:9], s[6:7], s4, v186, v[26:27]
	v_add_u32_e32 v9, s2, v9
	ds_write_b128 v187, v[22:25] offset:34560
	global_load_dwordx4 v[22:25], v[8:9], off
	s_waitcnt vmcnt(1)
	buffer_store_dword v32, off, s[36:39], 0 offset:372 ; 4-byte Folded Spill
	s_nop 0
	buffer_store_dword v33, off, s[36:39], 0 offset:376 ; 4-byte Folded Spill
	buffer_store_dword v34, off, s[36:39], 0 offset:380 ; 4-byte Folded Spill
	;; [unrolled: 1-line block ×3, first 2 shown]
	v_mad_u64_u32 v[8:9], s[6:7], s4, v186, v[8:9]
	v_add_u32_e32 v9, s2, v9
	s_mov_b32 s5, 0xd000
	s_waitcnt vmcnt(4)
	v_mul_f64 v[26:27], v[24:25], v[34:35]
	v_fmac_f64_e32 v[26:27], v[22:23], v[32:33]
	v_mul_f64 v[22:23], v[22:23], v[34:35]
	v_fma_f64 v[28:29], v[24:25], v[32:33], -v[22:23]
	ds_write_b128 v187, v[26:29] offset:41040
	global_load_dwordx4 v[22:25], v[8:9], off
	global_load_dwordx4 v[32:35], v[18:19], off offset:2464
	s_waitcnt vmcnt(0)
	buffer_store_dword v32, off, s[36:39], 0 offset:308 ; 4-byte Folded Spill
	s_nop 0
	buffer_store_dword v33, off, s[36:39], 0 offset:312 ; 4-byte Folded Spill
	buffer_store_dword v34, off, s[36:39], 0 offset:316 ; 4-byte Folded Spill
	;; [unrolled: 1-line block ×3, first 2 shown]
	v_mul_f64 v[18:19], v[22:23], v[34:35]
	v_fma_f64 v[28:29], v[24:25], v[32:33], -v[18:19]
	v_mad_u64_u32 v[18:19], s[6:7], s4, v186, v[8:9]
	v_add_co_u32_e32 v8, vcc, s5, v252
	v_mul_f64 v[26:27], v[24:25], v[34:35]
	v_addc_co_u32_e32 v9, vcc, 0, v253, vcc
	v_fmac_f64_e32 v[26:27], v[22:23], v[32:33]
	global_load_dwordx4 v[32:35], v[8:9], off offset:752
	v_add_u32_e32 v19, s2, v19
	global_load_dwordx4 v[22:25], v[18:19], off
	ds_write_b128 v187, v[26:29] offset:47520
	s_waitcnt vmcnt(1)
	buffer_store_dword v32, off, s[36:39], 0 offset:388 ; 4-byte Folded Spill
	s_nop 0
	buffer_store_dword v33, off, s[36:39], 0 offset:392 ; 4-byte Folded Spill
	buffer_store_dword v34, off, s[36:39], 0 offset:396 ; 4-byte Folded Spill
	;; [unrolled: 1-line block ×3, first 2 shown]
	s_movk_i32 s5, 0x10e
	v_add_co_u32_e32 v195, vcc, s5, v209
	s_waitcnt vmcnt(4)
	v_mul_f64 v[26:27], v[24:25], v[34:35]
	v_fmac_f64_e32 v[26:27], v[22:23], v[32:33]
	v_mul_f64 v[22:23], v[22:23], v[34:35]
	v_fma_f64 v[28:29], v[24:25], v[32:33], -v[22:23]
	ds_write_b128 v187, v[26:29] offset:54000
	v_mad_u64_u32 v[26:27], s[6:7], s4, v186, v[18:19]
	v_add_u32_e32 v27, s2, v27
	global_load_dwordx4 v[22:25], v[26:27], off
	global_load_dwordx4 v[32:35], v[20:21], off offset:3136
	s_waitcnt vmcnt(0)
	buffer_store_dword v32, off, s[36:39], 0 offset:324 ; 4-byte Folded Spill
	s_nop 0
	buffer_store_dword v33, off, s[36:39], 0 offset:328 ; 4-byte Folded Spill
	buffer_store_dword v34, off, s[36:39], 0 offset:332 ; 4-byte Folded Spill
	;; [unrolled: 1-line block ×3, first 2 shown]
	v_mad_u64_u32 v[26:27], s[6:7], s4, v30, v[26:27]
	v_add_u32_e32 v27, s3, v27
	s_movk_i32 s3, 0x2a3
	v_add_co_u32_e32 v192, vcc, s3, v209
	s_movk_i32 s3, 0x438
	v_add_co_u32_e32 v251, vcc, s3, v209
	v_mul_f64 v[18:19], v[24:25], v[34:35]
	v_mul_f64 v[20:21], v[22:23], v[34:35]
	v_fmac_f64_e32 v[18:19], v[22:23], v[32:33]
	v_fma_f64 v[20:21], v[24:25], v[32:33], -v[20:21]
	ds_write_b128 v187, v[18:21] offset:60480
	global_load_dwordx4 v[18:21], v[26:27], off
	global_load_dwordx4 v[28:31], v[2:3], off offset:224
	s_waitcnt vmcnt(0)
	buffer_store_dword v28, off, s[36:39], 0 offset:140 ; 4-byte Folded Spill
	s_nop 0
	buffer_store_dword v29, off, s[36:39], 0 offset:144 ; 4-byte Folded Spill
	buffer_store_dword v30, off, s[36:39], 0 offset:148 ; 4-byte Folded Spill
	buffer_store_dword v31, off, s[36:39], 0 offset:152 ; 4-byte Folded Spill
	v_mul_f64 v[22:23], v[20:21], v[30:31]
	v_mul_f64 v[2:3], v[18:19], v[30:31]
	v_fmac_f64_e32 v[22:23], v[18:19], v[28:29]
	v_fma_f64 v[24:25], v[20:21], v[28:29], -v[2:3]
	v_mad_u64_u32 v[2:3], s[6:7], s4, v186, v[26:27]
	ds_write_b128 v187, v[22:25] offset:4320
	v_add_u32_e32 v3, s2, v3
	global_load_dwordx4 v[18:21], v[2:3], off
	global_load_dwordx4 v[22:25], v[16:17], off offset:2608
	s_waitcnt vmcnt(0)
	buffer_store_dword v22, off, s[36:39], 0 offset:156 ; 4-byte Folded Spill
	s_nop 0
	buffer_store_dword v23, off, s[36:39], 0 offset:160 ; 4-byte Folded Spill
	buffer_store_dword v24, off, s[36:39], 0 offset:164 ; 4-byte Folded Spill
	buffer_store_dword v25, off, s[36:39], 0 offset:168 ; 4-byte Folded Spill
	v_mad_u64_u32 v[2:3], s[6:7], s4, v186, v[2:3]
	v_add_u32_e32 v3, s2, v3
	v_mul_f64 v[16:17], v[20:21], v[24:25]
	v_fmac_f64_e32 v[16:17], v[18:19], v[22:23]
	v_mul_f64 v[18:19], v[18:19], v[24:25]
	v_fma_f64 v[18:19], v[20:21], v[22:23], -v[18:19]
	ds_write_b128 v187, v[16:19] offset:10800
	global_load_dwordx4 v[16:19], v[2:3], off
	global_load_dwordx4 v[22:25], v[6:7], off offset:896
	s_waitcnt vmcnt(0)
	buffer_store_dword v22, off, s[36:39], 0 offset:260 ; 4-byte Folded Spill
	s_nop 0
	buffer_store_dword v23, off, s[36:39], 0 offset:264 ; 4-byte Folded Spill
	buffer_store_dword v24, off, s[36:39], 0 offset:268 ; 4-byte Folded Spill
	;; [unrolled: 1-line block ×3, first 2 shown]
	v_mad_u64_u32 v[2:3], s[6:7], s4, v186, v[2:3]
	v_add_u32_e32 v3, s2, v3
	v_mul_f64 v[20:21], v[18:19], v[24:25]
	v_mul_f64 v[6:7], v[16:17], v[24:25]
	v_fmac_f64_e32 v[20:21], v[16:17], v[22:23]
	v_fma_f64 v[22:23], v[18:19], v[22:23], -v[6:7]
	ds_write_b128 v187, v[20:23] offset:17280
	global_load_dwordx4 v[16:19], v[2:3], off
	global_load_dwordx4 v[20:23], v[14:15], off offset:3280
	s_waitcnt vmcnt(0)
	buffer_store_dword v20, off, s[36:39], 0 offset:208 ; 4-byte Folded Spill
	s_nop 0
	buffer_store_dword v21, off, s[36:39], 0 offset:212 ; 4-byte Folded Spill
	buffer_store_dword v22, off, s[36:39], 0 offset:216 ; 4-byte Folded Spill
	;; [unrolled: 1-line block ×3, first 2 shown]
	v_mul_f64 v[14:15], v[18:19], v[22:23]
	v_mul_f64 v[6:7], v[16:17], v[22:23]
	v_fmac_f64_e32 v[14:15], v[16:17], v[20:21]
	v_fma_f64 v[16:17], v[18:19], v[20:21], -v[6:7]
	v_mad_u64_u32 v[6:7], s[6:7], s4, v186, v[2:3]
	ds_write_b128 v187, v[14:17] offset:23760
	v_add_u32_e32 v7, s2, v7
	global_load_dwordx4 v[14:17], v[6:7], off
	global_load_dwordx4 v[18:21], v[4:5], off offset:1568
	s_waitcnt vmcnt(0)
	buffer_store_dword v18, off, s[36:39], 0 offset:172 ; 4-byte Folded Spill
	s_nop 0
	buffer_store_dword v19, off, s[36:39], 0 offset:176 ; 4-byte Folded Spill
	buffer_store_dword v20, off, s[36:39], 0 offset:180 ; 4-byte Folded Spill
	;; [unrolled: 1-line block ×3, first 2 shown]
	v_mad_u64_u32 v[6:7], s[6:7], s4, v186, v[6:7]
	v_add_u32_e32 v7, s2, v7
	v_mul_f64 v[2:3], v[16:17], v[20:21]
	v_mul_f64 v[4:5], v[14:15], v[20:21]
	v_fmac_f64_e32 v[2:3], v[14:15], v[18:19]
	v_fma_f64 v[4:5], v[16:17], v[18:19], -v[4:5]
	ds_write_b128 v187, v[2:5] offset:30240
	global_load_dwordx4 v[2:5], v[6:7], off
	global_load_dwordx4 v[14:17], v[12:13], off offset:3952
	s_waitcnt vmcnt(0)
	buffer_store_dword v14, off, s[36:39], 0 offset:500 ; 4-byte Folded Spill
	s_nop 0
	buffer_store_dword v15, off, s[36:39], 0 offset:504 ; 4-byte Folded Spill
	buffer_store_dword v16, off, s[36:39], 0 offset:508 ; 4-byte Folded Spill
	;; [unrolled: 1-line block ×3, first 2 shown]
	v_mad_u64_u32 v[6:7], s[6:7], s4, v186, v[6:7]
	v_add_u32_e32 v7, s2, v7
	v_mul_f64 v[12:13], v[4:5], v[16:17]
	v_fmac_f64_e32 v[12:13], v[2:3], v[14:15]
	v_mul_f64 v[2:3], v[2:3], v[16:17]
	v_fma_f64 v[14:15], v[4:5], v[14:15], -v[2:3]
	ds_write_b128 v187, v[12:15] offset:36720
	global_load_dwordx4 v[2:5], v[6:7], off
	global_load_dwordx4 v[12:15], v[10:11], off offset:2240
	s_waitcnt vmcnt(0)
	buffer_store_dword v12, off, s[36:39], 0 offset:452 ; 4-byte Folded Spill
	s_nop 0
	buffer_store_dword v13, off, s[36:39], 0 offset:456 ; 4-byte Folded Spill
	buffer_store_dword v14, off, s[36:39], 0 offset:460 ; 4-byte Folded Spill
	;; [unrolled: 1-line block ×3, first 2 shown]
	v_mad_u64_u32 v[6:7], s[6:7], s4, v186, v[6:7]
	v_add_u32_e32 v7, s2, v7
	v_mul_f64 v[10:11], v[4:5], v[14:15]
	v_fmac_f64_e32 v[10:11], v[2:3], v[12:13]
	v_mul_f64 v[2:3], v[2:3], v[14:15]
	v_fma_f64 v[12:13], v[4:5], v[12:13], -v[2:3]
	ds_write_b128 v187, v[10:13] offset:43200
	global_load_dwordx4 v[2:5], v[6:7], off
	global_load_dwordx4 v[10:13], v[0:1], off offset:528
	s_waitcnt vmcnt(0)
	buffer_store_dword v10, off, s[36:39], 0 offset:484 ; 4-byte Folded Spill
	s_nop 0
	buffer_store_dword v11, off, s[36:39], 0 offset:488 ; 4-byte Folded Spill
	buffer_store_dword v12, off, s[36:39], 0 offset:492 ; 4-byte Folded Spill
	;; [unrolled: 1-line block ×3, first 2 shown]
	v_mul_f64 v[0:1], v[4:5], v[12:13]
	v_fmac_f64_e32 v[0:1], v[2:3], v[10:11]
	v_mul_f64 v[2:3], v[2:3], v[12:13]
	v_fma_f64 v[2:3], v[4:5], v[10:11], -v[2:3]
	v_mad_u64_u32 v[10:11], s[6:7], s4, v186, v[6:7]
	ds_write_b128 v187, v[0:3] offset:49680
	v_add_u32_e32 v11, s2, v11
	global_load_dwordx4 v[0:3], v[10:11], off
	s_nop 0
	global_load_dwordx4 v[6:9], v[8:9], off offset:2912
	s_waitcnt vmcnt(0)
	buffer_store_dword v6, off, s[36:39], 0 offset:420 ; 4-byte Folded Spill
	s_nop 0
	buffer_store_dword v7, off, s[36:39], 0 offset:424 ; 4-byte Folded Spill
	buffer_store_dword v8, off, s[36:39], 0 offset:428 ; 4-byte Folded Spill
	;; [unrolled: 1-line block ×3, first 2 shown]
	s_mov_b32 s6, 0x134454ff
	s_mov_b32 s7, 0x3fee6f0e
	;; [unrolled: 1-line block ×3, first 2 shown]
	v_mul_f64 v[4:5], v[2:3], v[8:9]
	v_fmac_f64_e32 v[4:5], v[0:1], v[6:7]
	v_mul_f64 v[0:1], v[0:1], v[8:9]
	v_fma_f64 v[6:7], v[2:3], v[6:7], -v[0:1]
	v_mad_u64_u32 v[0:1], s[4:5], s4, v186, v[10:11]
	v_add_u32_e32 v1, s2, v1
	s_mov_b32 s2, 0xf000
	v_add_co_u32_e32 v248, vcc, s2, v252
	v_addc_co_u32_e32 v249, vcc, 0, v253, vcc
	ds_write_b128 v187, v[4:7] offset:56160
	global_load_dwordx4 v[4:7], v[248:249], off offset:1200
	s_movk_i32 s2, 0xcd
	global_load_dwordx4 v[0:3], v[0:1], off
	s_mov_b32 s5, 0xbfebb67a
	s_waitcnt vmcnt(1)
	v_pk_mov_b32 v[8:9], v[6:7], v[6:7] op_sel:[0,1]
	v_pk_mov_b32 v[6:7], v[4:5], v[4:5] op_sel:[0,1]
	s_waitcnt vmcnt(0)
	v_mul_f64 v[4:5], v[2:3], v[8:9]
	v_fmac_f64_e32 v[4:5], v[0:1], v[6:7]
	v_mul_f64 v[0:1], v[0:1], v[8:9]
	buffer_store_dword v6, off, s[36:39], 0 offset:276 ; 4-byte Folded Spill
	s_nop 0
	buffer_store_dword v7, off, s[36:39], 0 offset:280 ; 4-byte Folded Spill
	buffer_store_dword v8, off, s[36:39], 0 offset:284 ; 4-byte Folded Spill
	buffer_store_dword v9, off, s[36:39], 0 offset:288 ; 4-byte Folded Spill
	v_fma_f64 v[6:7], v[2:3], v[6:7], -v[0:1]
	ds_write_b128 v187, v[4:7] offset:62640
	s_waitcnt lgkmcnt(0)
	s_barrier
	ds_read_b128 v[32:35], v187
	ds_read_b128 v[18:21], v187 offset:6480
	ds_read_b128 v[22:25], v187 offset:12960
	;; [unrolled: 1-line block ×29, first 2 shown]
	s_waitcnt lgkmcnt(14)
	v_add_f64 v[16:17], v[32:33], v[22:23]
	v_add_f64 v[16:17], v[16:17], v[26:27]
	;; [unrolled: 1-line block ×5, first 2 shown]
	v_fma_f64 v[30:31], -0.5, v[16:17], v[32:33]
	v_add_f64 v[16:17], v[24:25], -v[126:127]
	v_fma_f64 v[98:99], s[6:7], v[16:17], v[30:31]
	v_add_f64 v[128:129], v[28:29], -v[42:43]
	v_add_f64 v[130:131], v[22:23], -v[26:27]
	v_add_f64 v[132:133], v[124:125], -v[40:41]
	v_fmac_f64_e32 v[30:31], s[16:17], v[16:17]
	v_fmac_f64_e32 v[98:99], s[8:9], v[128:129]
	v_add_f64 v[130:131], v[130:131], v[132:133]
	v_fmac_f64_e32 v[30:31], s[18:19], v[128:129]
	v_fmac_f64_e32 v[98:99], s[14:15], v[130:131]
	v_fmac_f64_e32 v[30:31], s[14:15], v[130:131]
	v_add_f64 v[130:131], v[22:23], v[124:125]
	v_fmac_f64_e32 v[32:33], -0.5, v[130:131]
	v_fma_f64 v[132:133], s[16:17], v[128:129], v[32:33]
	v_fmac_f64_e32 v[32:33], s[6:7], v[128:129]
	v_fmac_f64_e32 v[132:133], s[8:9], v[16:17]
	v_fmac_f64_e32 v[32:33], s[18:19], v[16:17]
	v_add_f64 v[16:17], v[34:35], v[24:25]
	v_add_f64 v[130:131], v[26:27], -v[22:23]
	v_add_f64 v[134:135], v[40:41], -v[124:125]
	v_add_f64 v[16:17], v[16:17], v[28:29]
	v_add_f64 v[130:131], v[130:131], v[134:135]
	v_add_f64 v[16:17], v[16:17], v[42:43]
	v_fmac_f64_e32 v[132:133], s[14:15], v[130:131]
	v_fmac_f64_e32 v[32:33], s[14:15], v[130:131]
	v_add_f64 v[130:131], v[16:17], v[126:127]
	v_add_f64 v[16:17], v[28:29], v[42:43]
	v_fma_f64 v[128:129], -0.5, v[16:17], v[34:35]
	v_add_f64 v[16:17], v[22:23], -v[124:125]
	v_fma_f64 v[22:23], s[16:17], v[16:17], v[128:129]
	v_add_f64 v[26:27], v[26:27], -v[40:41]
	v_add_f64 v[40:41], v[24:25], -v[28:29]
	v_add_f64 v[124:125], v[126:127], -v[42:43]
	v_fmac_f64_e32 v[128:129], s[6:7], v[16:17]
	v_fmac_f64_e32 v[22:23], s[18:19], v[26:27]
	v_add_f64 v[40:41], v[40:41], v[124:125]
	v_fmac_f64_e32 v[128:129], s[8:9], v[26:27]
	v_fmac_f64_e32 v[22:23], s[14:15], v[40:41]
	v_fmac_f64_e32 v[128:129], s[14:15], v[40:41]
	v_add_f64 v[40:41], v[24:25], v[126:127]
	v_fmac_f64_e32 v[34:35], -0.5, v[40:41]
	v_fma_f64 v[124:125], s[6:7], v[26:27], v[34:35]
	v_fmac_f64_e32 v[34:35], s[16:17], v[26:27]
	v_fmac_f64_e32 v[124:125], s[18:19], v[16:17]
	v_fmac_f64_e32 v[34:35], s[8:9], v[16:17]
	v_add_f64 v[16:17], v[18:19], v[0:1]
	v_add_f64 v[24:25], v[28:29], -v[24:25]
	v_add_f64 v[28:29], v[42:43], -v[126:127]
	v_add_f64 v[16:17], v[16:17], v[4:5]
	v_add_f64 v[24:25], v[24:25], v[28:29]
	v_add_f64 v[16:17], v[16:17], v[8:9]
	v_fmac_f64_e32 v[124:125], s[14:15], v[24:25]
	v_fmac_f64_e32 v[34:35], s[14:15], v[24:25]
	v_add_f64 v[24:25], v[16:17], v[12:13]
	v_add_f64 v[16:17], v[4:5], v[8:9]
	;; [unrolled: 28-line block ×3, first 2 shown]
	v_fma_f64 v[40:41], -0.5, v[16:17], v[20:21]
	v_add_f64 v[0:1], v[0:1], -v[12:13]
	v_fma_f64 v[134:135], s[16:17], v[0:1], v[40:41]
	v_add_f64 v[4:5], v[4:5], -v[8:9]
	v_add_f64 v[8:9], v[2:3], -v[6:7]
	;; [unrolled: 1-line block ×3, first 2 shown]
	v_fmac_f64_e32 v[40:41], s[6:7], v[0:1]
	v_fmac_f64_e32 v[134:135], s[18:19], v[4:5]
	v_add_f64 v[8:9], v[8:9], v[12:13]
	v_fmac_f64_e32 v[40:41], s[8:9], v[4:5]
	v_fmac_f64_e32 v[134:135], s[14:15], v[8:9]
	v_fmac_f64_e32 v[40:41], s[14:15], v[8:9]
	v_add_f64 v[8:9], v[2:3], v[14:15]
	v_fmac_f64_e32 v[20:21], -0.5, v[8:9]
	v_fma_f64 v[136:137], s[6:7], v[4:5], v[20:21]
	v_add_f64 v[2:3], v[6:7], -v[2:3]
	v_add_f64 v[6:7], v[10:11], -v[14:15]
	v_fmac_f64_e32 v[136:137], s[18:19], v[0:1]
	v_add_f64 v[2:3], v[2:3], v[6:7]
	v_fmac_f64_e32 v[20:21], s[16:17], v[4:5]
	v_fmac_f64_e32 v[136:137], s[14:15], v[2:3]
	;; [unrolled: 1-line block ×3, first 2 shown]
	v_add_f64 v[8:9], v[84:85], v[24:25]
	v_mul_f64 v[138:139], v[28:29], s[24:25]
	v_mul_f64 v[146:147], v[28:29], s[18:19]
	v_add_f64 v[28:29], v[84:85], -v[24:25]
	v_add_f64 v[84:85], v[76:77], v[90:91]
	v_fmac_f64_e32 v[20:21], s[14:15], v[2:3]
	v_mul_f64 v[140:141], v[136:137], s[6:7]
	v_mul_f64 v[142:143], v[18:19], s[22:23]
	;; [unrolled: 1-line block ×3, first 2 shown]
	v_add_f64 v[84:85], v[84:85], v[94:95]
	v_fmac_f64_e32 v[140:141], s[14:15], v[42:43]
	v_fmac_f64_e32 v[142:143], s[6:7], v[20:21]
	;; [unrolled: 1-line block ×3, first 2 shown]
	v_mul_f64 v[42:43], v[42:43], s[16:17]
	s_waitcnt lgkmcnt(13)
	v_add_f64 v[84:85], v[84:85], v[108:109]
	v_fmac_f64_e32 v[138:139], s[8:9], v[134:135]
	v_add_f64 v[16:17], v[32:33], v[142:143]
	v_add_f64 v[12:13], v[30:31], v[144:145]
	;; [unrolled: 1-line block ×3, first 2 shown]
	v_fmac_f64_e32 v[146:147], s[24:25], v[134:135]
	v_fmac_f64_e32 v[42:43], s[14:15], v[136:137]
	v_mul_f64 v[134:135], v[20:21], s[22:23]
	v_mul_f64 v[136:137], v[40:41], s[20:21]
	v_add_f64 v[40:41], v[32:33], -v[142:143]
	v_add_f64 v[32:33], v[30:31], -v[144:145]
	;; [unrolled: 1-line block ×3, first 2 shown]
	s_waitcnt lgkmcnt(11)
	v_add_f64 v[126:127], v[84:85], v[120:121]
	v_add_f64 v[84:85], v[94:95], v[108:109]
	;; [unrolled: 1-line block ×3, first 2 shown]
	v_fmac_f64_e32 v[134:135], s[16:17], v[18:19]
	v_fmac_f64_e32 v[136:137], s[18:19], v[26:27]
	v_add_f64 v[24:25], v[98:99], -v[138:139]
	v_fma_f64 v[98:99], -0.5, v[84:85], v[76:77]
	v_add_f64 v[84:85], v[92:93], -v[122:123]
	v_add_f64 v[0:1], v[132:133], v[140:141]
	v_add_f64 v[6:7], v[22:23], v[146:147]
	;; [unrolled: 1-line block ×5, first 2 shown]
	v_add_f64 v[20:21], v[132:133], -v[140:141]
	v_add_f64 v[26:27], v[22:23], -v[146:147]
	;; [unrolled: 1-line block ×5, first 2 shown]
	v_fma_f64 v[130:131], s[6:7], v[84:85], v[98:99]
	v_add_f64 v[124:125], v[96:97], -v[110:111]
	v_add_f64 v[128:129], v[90:91], -v[94:95]
	;; [unrolled: 1-line block ×3, first 2 shown]
	v_fmac_f64_e32 v[98:99], s[16:17], v[84:85]
	v_fmac_f64_e32 v[130:131], s[8:9], v[124:125]
	v_add_f64 v[128:129], v[128:129], v[132:133]
	v_fmac_f64_e32 v[98:99], s[18:19], v[124:125]
	v_fmac_f64_e32 v[130:131], s[14:15], v[128:129]
	;; [unrolled: 1-line block ×3, first 2 shown]
	v_add_f64 v[128:129], v[90:91], v[120:121]
	v_fmac_f64_e32 v[76:77], -0.5, v[128:129]
	v_fma_f64 v[132:133], s[16:17], v[124:125], v[76:77]
	v_fmac_f64_e32 v[76:77], s[6:7], v[124:125]
	v_fmac_f64_e32 v[132:133], s[8:9], v[84:85]
	;; [unrolled: 1-line block ×3, first 2 shown]
	v_add_f64 v[84:85], v[78:79], v[92:93]
	v_add_f64 v[128:129], v[94:95], -v[90:91]
	v_add_f64 v[134:135], v[108:109], -v[120:121]
	v_add_f64 v[84:85], v[84:85], v[96:97]
	v_add_f64 v[128:129], v[128:129], v[134:135]
	;; [unrolled: 1-line block ×3, first 2 shown]
	v_fmac_f64_e32 v[132:133], s[14:15], v[128:129]
	v_fmac_f64_e32 v[76:77], s[14:15], v[128:129]
	v_add_f64 v[128:129], v[84:85], v[122:123]
	v_add_f64 v[84:85], v[96:97], v[110:111]
	v_fma_f64 v[124:125], -0.5, v[84:85], v[78:79]
	v_add_f64 v[84:85], v[90:91], -v[120:121]
	v_fma_f64 v[90:91], s[16:17], v[84:85], v[124:125]
	v_add_f64 v[94:95], v[94:95], -v[108:109]
	v_add_f64 v[108:109], v[92:93], -v[96:97]
	;; [unrolled: 1-line block ×3, first 2 shown]
	v_fmac_f64_e32 v[124:125], s[6:7], v[84:85]
	v_fmac_f64_e32 v[90:91], s[18:19], v[94:95]
	v_add_f64 v[108:109], v[108:109], v[120:121]
	v_fmac_f64_e32 v[124:125], s[8:9], v[94:95]
	v_fmac_f64_e32 v[90:91], s[14:15], v[108:109]
	;; [unrolled: 1-line block ×3, first 2 shown]
	v_add_f64 v[108:109], v[92:93], v[122:123]
	v_fmac_f64_e32 v[78:79], -0.5, v[108:109]
	v_fma_f64 v[120:121], s[6:7], v[94:95], v[78:79]
	v_fmac_f64_e32 v[78:79], s[16:17], v[94:95]
	v_fmac_f64_e32 v[120:121], s[18:19], v[84:85]
	;; [unrolled: 1-line block ×3, first 2 shown]
	v_add_f64 v[84:85], v[86:87], v[64:65]
	v_add_f64 v[92:93], v[96:97], -v[92:93]
	v_add_f64 v[96:97], v[110:111], -v[122:123]
	v_add_f64 v[84:85], v[84:85], v[68:69]
	v_add_f64 v[92:93], v[92:93], v[96:97]
	;; [unrolled: 1-line block ×3, first 2 shown]
	v_fmac_f64_e32 v[120:121], s[14:15], v[92:93]
	v_fmac_f64_e32 v[78:79], s[14:15], v[92:93]
	s_waitcnt lgkmcnt(10)
	v_add_f64 v[92:93], v[84:85], v[80:81]
	v_add_f64 v[84:85], v[68:69], v[72:73]
	v_fma_f64 v[94:95], -0.5, v[84:85], v[86:87]
	v_add_f64 v[84:85], v[66:67], -v[82:83]
	v_fma_f64 v[96:97], s[6:7], v[84:85], v[94:95]
	v_add_f64 v[108:109], v[70:71], -v[74:75]
	v_add_f64 v[110:111], v[64:65], -v[68:69]
	;; [unrolled: 1-line block ×3, first 2 shown]
	v_fmac_f64_e32 v[94:95], s[16:17], v[84:85]
	v_fmac_f64_e32 v[96:97], s[8:9], v[108:109]
	v_add_f64 v[110:111], v[110:111], v[122:123]
	v_fmac_f64_e32 v[94:95], s[18:19], v[108:109]
	v_fmac_f64_e32 v[96:97], s[14:15], v[110:111]
	;; [unrolled: 1-line block ×3, first 2 shown]
	v_add_f64 v[110:111], v[64:65], v[80:81]
	v_fmac_f64_e32 v[86:87], -0.5, v[110:111]
	v_fma_f64 v[122:123], s[16:17], v[108:109], v[86:87]
	v_fmac_f64_e32 v[86:87], s[6:7], v[108:109]
	v_fmac_f64_e32 v[122:123], s[8:9], v[84:85]
	v_fmac_f64_e32 v[86:87], s[18:19], v[84:85]
	v_add_f64 v[84:85], v[88:89], v[66:67]
	v_add_f64 v[110:111], v[68:69], -v[64:65]
	v_add_f64 v[134:135], v[72:73], -v[80:81]
	v_add_f64 v[84:85], v[84:85], v[70:71]
	v_add_f64 v[110:111], v[110:111], v[134:135]
	;; [unrolled: 1-line block ×3, first 2 shown]
	v_fmac_f64_e32 v[122:123], s[14:15], v[110:111]
	v_fmac_f64_e32 v[86:87], s[14:15], v[110:111]
	v_add_f64 v[110:111], v[84:85], v[82:83]
	v_add_f64 v[84:85], v[70:71], v[74:75]
	v_fma_f64 v[108:109], -0.5, v[84:85], v[88:89]
	v_add_f64 v[64:65], v[64:65], -v[80:81]
	v_fma_f64 v[134:135], s[16:17], v[64:65], v[108:109]
	v_add_f64 v[68:69], v[68:69], -v[72:73]
	v_add_f64 v[72:73], v[66:67], -v[70:71]
	;; [unrolled: 1-line block ×3, first 2 shown]
	v_fmac_f64_e32 v[108:109], s[6:7], v[64:65]
	v_fmac_f64_e32 v[134:135], s[18:19], v[68:69]
	v_add_f64 v[72:73], v[72:73], v[80:81]
	v_fmac_f64_e32 v[108:109], s[8:9], v[68:69]
	v_fmac_f64_e32 v[134:135], s[14:15], v[72:73]
	;; [unrolled: 1-line block ×3, first 2 shown]
	v_add_f64 v[72:73], v[66:67], v[82:83]
	v_fmac_f64_e32 v[88:89], -0.5, v[72:73]
	v_fma_f64 v[136:137], s[6:7], v[68:69], v[88:89]
	v_add_f64 v[66:67], v[70:71], -v[66:67]
	v_add_f64 v[70:71], v[74:75], -v[82:83]
	v_fmac_f64_e32 v[136:137], s[18:19], v[64:65]
	v_add_f64 v[66:67], v[66:67], v[70:71]
	v_fmac_f64_e32 v[136:137], s[14:15], v[66:67]
	v_mul_f64 v[140:141], v[136:137], s[6:7]
	v_fmac_f64_e32 v[88:89], s[16:17], v[68:69]
	v_fmac_f64_e32 v[140:141], s[14:15], v[122:123]
	v_mul_f64 v[146:147], v[96:97], s[18:19]
	v_mul_f64 v[122:123], v[122:123], s[16:17]
	v_fmac_f64_e32 v[88:89], s[8:9], v[64:65]
	v_fmac_f64_e32 v[146:147], s[24:25], v[134:135]
	;; [unrolled: 1-line block ×3, first 2 shown]
	v_mul_f64 v[136:137], v[108:109], s[20:21]
	v_fmac_f64_e32 v[88:89], s[14:15], v[66:67]
	v_mul_f64 v[144:145], v[94:95], s[20:21]
	v_add_f64 v[70:71], v[90:91], v[146:147]
	v_add_f64 v[66:67], v[120:121], v[122:123]
	v_fmac_f64_e32 v[136:137], s[18:19], v[94:95]
	v_add_f64 v[94:95], v[90:91], -v[146:147]
	v_add_f64 v[90:91], v[120:121], -v[122:123]
	s_waitcnt lgkmcnt(7)
	v_add_f64 v[120:121], v[36:37], v[100:101]
	v_mul_f64 v[138:139], v[96:97], s[24:25]
	s_waitcnt lgkmcnt(5)
	v_add_f64 v[120:121], v[120:121], v[104:105]
	v_fmac_f64_e32 v[138:139], s[8:9], v[134:135]
	v_mul_f64 v[142:143], v[86:87], s[22:23]
	v_mul_f64 v[134:135], v[88:89], s[22:23]
	s_waitcnt lgkmcnt(3)
	v_add_f64 v[120:121], v[120:121], v[112:113]
	v_add_f64 v[72:73], v[126:127], v[92:93]
	v_fmac_f64_e32 v[142:143], s[6:7], v[88:89]
	v_fmac_f64_e32 v[144:145], s[8:9], v[108:109]
	;; [unrolled: 1-line block ×3, first 2 shown]
	v_add_f64 v[96:97], v[126:127], -v[92:93]
	s_waitcnt lgkmcnt(1)
	v_add_f64 v[126:127], v[120:121], v[116:117]
	v_add_f64 v[120:121], v[104:105], v[112:113]
	;; [unrolled: 1-line block ×7, first 2 shown]
	v_add_f64 v[108:109], v[76:77], -v[142:143]
	v_add_f64 v[76:77], v[98:99], -v[144:145]
	;; [unrolled: 1-line block ×5, first 2 shown]
	v_fma_f64 v[124:125], -0.5, v[120:121], v[36:37]
	v_add_f64 v[120:121], v[102:103], -v[118:119]
	v_add_f64 v[68:69], v[130:131], v[138:139]
	v_add_f64 v[64:65], v[132:133], v[140:141]
	v_add_f64 v[92:93], v[130:131], -v[138:139]
	v_add_f64 v[88:89], v[132:133], -v[140:141]
	v_fma_f64 v[130:131], s[6:7], v[120:121], v[124:125]
	v_add_f64 v[122:123], v[106:107], -v[114:115]
	v_add_f64 v[128:129], v[100:101], -v[104:105]
	;; [unrolled: 1-line block ×3, first 2 shown]
	v_fmac_f64_e32 v[124:125], s[16:17], v[120:121]
	v_fmac_f64_e32 v[130:131], s[8:9], v[122:123]
	v_add_f64 v[128:129], v[128:129], v[132:133]
	v_fmac_f64_e32 v[124:125], s[18:19], v[122:123]
	v_fmac_f64_e32 v[130:131], s[14:15], v[128:129]
	;; [unrolled: 1-line block ×3, first 2 shown]
	v_add_f64 v[128:129], v[100:101], v[116:117]
	v_fmac_f64_e32 v[36:37], -0.5, v[128:129]
	v_fma_f64 v[134:135], s[16:17], v[122:123], v[36:37]
	v_fmac_f64_e32 v[36:37], s[6:7], v[122:123]
	v_fmac_f64_e32 v[134:135], s[8:9], v[120:121]
	;; [unrolled: 1-line block ×3, first 2 shown]
	v_add_f64 v[120:121], v[38:39], v[102:103]
	v_add_f64 v[128:129], v[104:105], -v[100:101]
	v_add_f64 v[132:133], v[112:113], -v[116:117]
	v_add_f64 v[120:121], v[120:121], v[106:107]
	v_add_f64 v[128:129], v[128:129], v[132:133]
	;; [unrolled: 1-line block ×3, first 2 shown]
	v_fmac_f64_e32 v[134:135], s[14:15], v[128:129]
	v_fmac_f64_e32 v[36:37], s[14:15], v[128:129]
	v_add_f64 v[128:129], v[120:121], v[118:119]
	v_add_f64 v[120:121], v[106:107], v[114:115]
	v_fma_f64 v[120:121], -0.5, v[120:121], v[38:39]
	v_add_f64 v[100:101], v[100:101], -v[116:117]
	v_fma_f64 v[132:133], s[16:17], v[100:101], v[120:121]
	v_add_f64 v[104:105], v[104:105], -v[112:113]
	v_add_f64 v[112:113], v[102:103], -v[106:107]
	v_add_f64 v[116:117], v[118:119], -v[114:115]
	v_fmac_f64_e32 v[120:121], s[6:7], v[100:101]
	v_fmac_f64_e32 v[132:133], s[18:19], v[104:105]
	v_add_f64 v[112:113], v[112:113], v[116:117]
	v_fmac_f64_e32 v[120:121], s[8:9], v[104:105]
	v_fmac_f64_e32 v[132:133], s[14:15], v[112:113]
	;; [unrolled: 1-line block ×3, first 2 shown]
	v_add_f64 v[112:113], v[102:103], v[118:119]
	v_fmac_f64_e32 v[38:39], -0.5, v[112:113]
	v_fma_f64 v[136:137], s[6:7], v[104:105], v[38:39]
	v_fmac_f64_e32 v[38:39], s[16:17], v[104:105]
	v_fmac_f64_e32 v[136:137], s[18:19], v[100:101]
	;; [unrolled: 1-line block ×3, first 2 shown]
	v_add_f64 v[100:101], v[44:45], v[48:49]
	v_add_f64 v[100:101], v[100:101], v[52:53]
	;; [unrolled: 1-line block ×3, first 2 shown]
	v_add_f64 v[102:103], v[106:107], -v[102:103]
	v_add_f64 v[106:107], v[114:115], -v[118:119]
	s_waitcnt lgkmcnt(0)
	v_add_f64 v[104:105], v[100:101], v[60:61]
	v_add_f64 v[100:101], v[52:53], v[56:57]
	;; [unrolled: 1-line block ×3, first 2 shown]
	v_fma_f64 v[106:107], -0.5, v[100:101], v[44:45]
	v_add_f64 v[100:101], v[50:51], -v[62:63]
	v_fmac_f64_e32 v[136:137], s[14:15], v[102:103]
	v_fmac_f64_e32 v[38:39], s[14:15], v[102:103]
	v_fma_f64 v[102:103], s[6:7], v[100:101], v[106:107]
	v_add_f64 v[112:113], v[54:55], -v[58:59]
	v_add_f64 v[114:115], v[48:49], -v[52:53]
	;; [unrolled: 1-line block ×3, first 2 shown]
	v_fmac_f64_e32 v[106:107], s[16:17], v[100:101]
	v_fmac_f64_e32 v[102:103], s[8:9], v[112:113]
	v_add_f64 v[114:115], v[114:115], v[116:117]
	v_fmac_f64_e32 v[106:107], s[18:19], v[112:113]
	v_fmac_f64_e32 v[102:103], s[14:15], v[114:115]
	;; [unrolled: 1-line block ×3, first 2 shown]
	v_add_f64 v[114:115], v[48:49], v[60:61]
	v_fmac_f64_e32 v[44:45], -0.5, v[114:115]
	v_fma_f64 v[116:117], s[16:17], v[112:113], v[44:45]
	v_fmac_f64_e32 v[44:45], s[6:7], v[112:113]
	v_fmac_f64_e32 v[116:117], s[8:9], v[100:101]
	;; [unrolled: 1-line block ×3, first 2 shown]
	v_add_f64 v[100:101], v[46:47], v[50:51]
	v_add_f64 v[114:115], v[52:53], -v[48:49]
	v_add_f64 v[118:119], v[56:57], -v[60:61]
	v_add_f64 v[100:101], v[100:101], v[54:55]
	v_add_f64 v[114:115], v[114:115], v[118:119]
	;; [unrolled: 1-line block ×3, first 2 shown]
	v_fmac_f64_e32 v[116:117], s[14:15], v[114:115]
	v_fmac_f64_e32 v[44:45], s[14:15], v[114:115]
	v_add_f64 v[114:115], v[100:101], v[62:63]
	v_add_f64 v[100:101], v[54:55], v[58:59]
	v_fma_f64 v[112:113], -0.5, v[100:101], v[46:47]
	v_add_f64 v[48:49], v[48:49], -v[60:61]
	v_fma_f64 v[118:119], s[16:17], v[48:49], v[112:113]
	v_add_f64 v[52:53], v[52:53], -v[56:57]
	v_add_f64 v[56:57], v[50:51], -v[54:55]
	;; [unrolled: 1-line block ×3, first 2 shown]
	v_fmac_f64_e32 v[112:113], s[6:7], v[48:49]
	v_fmac_f64_e32 v[118:119], s[18:19], v[52:53]
	v_add_f64 v[56:57], v[56:57], v[60:61]
	v_fmac_f64_e32 v[112:113], s[8:9], v[52:53]
	v_fmac_f64_e32 v[118:119], s[14:15], v[56:57]
	;; [unrolled: 1-line block ×3, first 2 shown]
	v_add_f64 v[56:57], v[50:51], v[62:63]
	v_fmac_f64_e32 v[46:47], -0.5, v[56:57]
	v_fma_f64 v[122:123], s[6:7], v[52:53], v[46:47]
	v_add_f64 v[50:51], v[54:55], -v[50:51]
	v_add_f64 v[54:55], v[58:59], -v[62:63]
	v_fmac_f64_e32 v[46:47], s[16:17], v[52:53]
	v_fmac_f64_e32 v[122:123], s[18:19], v[48:49]
	v_add_f64 v[50:51], v[50:51], v[54:55]
	v_fmac_f64_e32 v[46:47], s[8:9], v[48:49]
	v_mul_f64 v[138:139], v[102:103], s[24:25]
	v_mul_f64 v[146:147], v[102:103], s[18:19]
	v_fmac_f64_e32 v[122:123], s[14:15], v[50:51]
	v_fmac_f64_e32 v[46:47], s[14:15], v[50:51]
	v_fmac_f64_e32 v[138:139], s[8:9], v[118:119]
	v_fmac_f64_e32 v[146:147], s[24:25], v[118:119]
	v_mul_f64 v[118:119], v[116:117], s[16:17]
	v_mul_f64 v[140:141], v[122:123], s[6:7]
	v_fmac_f64_e32 v[118:119], s[14:15], v[122:123]
	v_mul_f64 v[148:149], v[46:47], s[22:23]
	v_mul_f64 v[122:123], v[112:113], s[20:21]
	;; [unrolled: 1-line block ×3, first 2 shown]
	v_fmac_f64_e32 v[148:149], s[16:17], v[44:45]
	v_fmac_f64_e32 v[122:123], s[18:19], v[106:107]
	;; [unrolled: 1-line block ×3, first 2 shown]
	v_add_f64 v[50:51], v[136:137], v[118:119]
	v_add_f64 v[102:103], v[38:39], v[148:149]
	;; [unrolled: 1-line block ×3, first 2 shown]
	v_add_f64 v[46:47], v[136:137], -v[118:119]
	v_add_f64 v[118:119], v[38:39], -v[148:149]
	;; [unrolled: 1-line block ×3, first 2 shown]
	v_mul_lo_u16_e32 v120, 10, v209
	v_lshlrev_b32_e32 v250, 4, v120
	v_mul_lo_u16_sdwa v120, v209, s2 dst_sel:DWORD dst_unused:UNUSED_PAD src0_sel:BYTE_0 src1_sel:DWORD
	v_lshrrev_b16_e32 v207, 11, v120
	v_mul_lo_u16_e32 v120, 10, v207
	v_mul_f64 v[144:145], v[106:107], s[20:21]
	s_barrier
	ds_write_b128 v250, v[8:11]
	ds_write_b128 v250, v[4:7] offset:16
	ds_write_b128 v250, v[0:3] offset:32
	ds_write_b128 v250, v[16:19] offset:48
	ds_write_b128 v250, v[12:15] offset:64
	ds_write_b128 v250, v[28:31] offset:80
	ds_write_b128 v250, v[24:27] offset:96
	ds_write_b128 v250, v[20:23] offset:112
	ds_write_b128 v250, v[40:43] offset:128
	ds_write_b128 v250, v[32:35] offset:144
	v_mul_u32_u24_e32 v0, 10, v194
	v_sub_u16_e32 v120, v209, v120
	v_fmac_f64_e32 v[140:141], s[14:15], v[116:117]
	v_fmac_f64_e32 v[144:145], s[8:9], v[112:113]
	v_lshlrev_b32_e32 v189, 4, v0
	v_mul_u32_u24_e32 v0, 10, v195
	v_and_b32_e32 v208, 0xff, v120
	v_add_f64 v[56:57], v[126:127], v[104:105]
	v_add_f64 v[52:53], v[130:131], v[138:139]
	;; [unrolled: 1-line block ×7, first 2 shown]
	v_add_f64 v[112:113], v[126:127], -v[104:105]
	v_add_f64 v[104:105], v[130:131], -v[138:139]
	;; [unrolled: 1-line block ×7, first 2 shown]
	v_lshlrev_b32_e32 v188, 4, v0
	v_lshlrev_b32_e32 v120, 6, v208
	ds_write_b128 v189, v[72:75]
	ds_write_b128 v189, v[68:71] offset:16
	ds_write_b128 v189, v[64:67] offset:32
	;; [unrolled: 1-line block ×9, first 2 shown]
	ds_write_b128 v188, v[56:59]
	ds_write_b128 v188, v[52:55] offset:16
	ds_write_b128 v188, v[48:51] offset:32
	;; [unrolled: 1-line block ×9, first 2 shown]
	s_waitcnt lgkmcnt(0)
	s_barrier
	ds_read_b128 v[20:23], v187
	ds_read_b128 v[116:119], v187 offset:12960
	ds_read_b128 v[112:115], v187 offset:25920
	;; [unrolled: 1-line block ×29, first 2 shown]
	global_load_dwordx4 v[128:131], v120, s[10:11] offset:48
	global_load_dwordx4 v[132:135], v120, s[10:11] offset:32
	;; [unrolled: 1-line block ×3, first 2 shown]
	global_load_dwordx4 v[136:139], v120, s[10:11]
	s_waitcnt vmcnt(0)
	buffer_store_dword v136, off, s[36:39], 0 offset:636 ; 4-byte Folded Spill
	s_nop 0
	buffer_store_dword v137, off, s[36:39], 0 offset:640 ; 4-byte Folded Spill
	buffer_store_dword v138, off, s[36:39], 0 offset:644 ; 4-byte Folded Spill
	;; [unrolled: 1-line block ×3, first 2 shown]
	s_mov_b32 s2, 0xcccd
	s_waitcnt lgkmcnt(14)
	v_mul_f64 v[120:121], v[118:119], v[138:139]
	v_fma_f64 v[122:123], v[116:117], v[136:137], -v[120:121]
	v_mul_f64 v[120:121], v[116:117], v[138:139]
	v_fmac_f64_e32 v[120:121], v[118:119], v[136:137]
	v_pk_mov_b32 v[138:139], v[126:127], v[126:127] op_sel:[0,1]
	v_pk_mov_b32 v[136:137], v[124:125], v[124:125] op_sel:[0,1]
	buffer_store_dword v136, off, s[36:39], 0 offset:620 ; 4-byte Folded Spill
	s_nop 0
	buffer_store_dword v137, off, s[36:39], 0 offset:624 ; 4-byte Folded Spill
	buffer_store_dword v138, off, s[36:39], 0 offset:628 ; 4-byte Folded Spill
	buffer_store_dword v139, off, s[36:39], 0 offset:632 ; 4-byte Folded Spill
	buffer_store_dword v132, off, s[36:39], 0 offset:604 ; 4-byte Folded Spill
	s_nop 0
	buffer_store_dword v133, off, s[36:39], 0 offset:608 ; 4-byte Folded Spill
	buffer_store_dword v134, off, s[36:39], 0 offset:612 ; 4-byte Folded Spill
	buffer_store_dword v135, off, s[36:39], 0 offset:616 ; 4-byte Folded Spill
	;; [unrolled: 5-line block ×3, first 2 shown]
	v_mul_f64 v[116:117], v[114:115], v[138:139]
	v_fma_f64 v[124:125], v[112:113], v[136:137], -v[116:117]
	v_mul_f64 v[112:113], v[112:113], v[138:139]
	v_fmac_f64_e32 v[112:113], v[114:115], v[136:137]
	v_mul_f64 v[114:115], v[110:111], v[134:135]
	v_fma_f64 v[126:127], v[108:109], v[132:133], -v[114:115]
	v_mul_f64 v[114:115], v[108:109], v[134:135]
	v_mul_f64 v[108:109], v[106:107], v[130:131]
	v_fmac_f64_e32 v[114:115], v[110:111], v[132:133]
	v_fma_f64 v[110:111], v[104:105], v[128:129], -v[108:109]
	v_mul_f64 v[104:105], v[104:105], v[130:131]
	v_fmac_f64_e32 v[104:105], v[106:107], v[128:129]
	v_mul_u32_u24_sdwa v106, v194, s2 dst_sel:DWORD dst_unused:UNUSED_PAD src0_sel:WORD_0 src1_sel:DWORD
	v_lshrrev_b32_e32 v204, 19, v106
	v_mul_lo_u16_e32 v106, 10, v204
	v_sub_u16_e32 v206, v194, v106
	v_lshlrev_b16_e32 v106, 2, v206
	v_lshlrev_b32_e32 v106, 4, v106
	global_load_dwordx4 v[116:119], v106, s[10:11] offset:48
	global_load_dwordx4 v[134:137], v106, s[10:11] offset:32
	;; [unrolled: 1-line block ×3, first 2 shown]
	global_load_dwordx4 v[138:141], v106, s[10:11]
	s_waitcnt vmcnt(0)
	buffer_store_dword v138, off, s[36:39], 0 offset:704 ; 4-byte Folded Spill
	s_nop 0
	buffer_store_dword v139, off, s[36:39], 0 offset:708 ; 4-byte Folded Spill
	buffer_store_dword v140, off, s[36:39], 0 offset:712 ; 4-byte Folded Spill
	;; [unrolled: 1-line block ×3, first 2 shown]
	v_mul_f64 v[106:107], v[102:103], v[140:141]
	v_mul_f64 v[128:129], v[100:101], v[140:141]
	v_fma_f64 v[106:107], v[100:101], v[138:139], -v[106:107]
	v_fmac_f64_e32 v[128:129], v[102:103], v[138:139]
	v_pk_mov_b32 v[140:141], v[132:133], v[132:133] op_sel:[0,1]
	v_pk_mov_b32 v[138:139], v[130:131], v[130:131] op_sel:[0,1]
	buffer_store_dword v138, off, s[36:39], 0 offset:688 ; 4-byte Folded Spill
	s_nop 0
	buffer_store_dword v139, off, s[36:39], 0 offset:692 ; 4-byte Folded Spill
	buffer_store_dword v140, off, s[36:39], 0 offset:696 ; 4-byte Folded Spill
	buffer_store_dword v141, off, s[36:39], 0 offset:700 ; 4-byte Folded Spill
	buffer_store_dword v134, off, s[36:39], 0 offset:672 ; 4-byte Folded Spill
	s_nop 0
	buffer_store_dword v135, off, s[36:39], 0 offset:676 ; 4-byte Folded Spill
	buffer_store_dword v136, off, s[36:39], 0 offset:680 ; 4-byte Folded Spill
	buffer_store_dword v137, off, s[36:39], 0 offset:684 ; 4-byte Folded Spill
	;; [unrolled: 5-line block ×3, first 2 shown]
	v_mul_f64 v[100:101], v[98:99], v[140:141]
	v_fma_f64 v[132:133], v[96:97], v[138:139], -v[100:101]
	v_mul_f64 v[130:131], v[96:97], v[140:141]
	v_mul_f64 v[96:97], v[94:95], v[136:137]
	v_fmac_f64_e32 v[130:131], v[98:99], v[138:139]
	v_fma_f64 v[98:99], v[92:93], v[134:135], -v[96:97]
	v_mul_f64 v[92:93], v[92:93], v[136:137]
	v_fmac_f64_e32 v[92:93], v[94:95], v[134:135]
	v_mul_f64 v[94:95], v[90:91], v[118:119]
	v_fma_f64 v[134:135], v[88:89], v[116:117], -v[94:95]
	v_mul_f64 v[94:95], v[88:89], v[118:119]
	v_mul_u32_u24_sdwa v88, v195, s2 dst_sel:DWORD dst_unused:UNUSED_PAD src0_sel:WORD_0 src1_sel:DWORD
	v_lshrrev_b32_e32 v201, 19, v88
	v_mul_lo_u16_e32 v88, 10, v201
	v_sub_u16_e32 v202, v195, v88
	v_lshlrev_b16_e32 v88, 2, v202
	v_lshlrev_b32_e32 v88, 4, v88
	v_fmac_f64_e32 v[94:95], v[90:91], v[116:117]
	global_load_dwordx4 v[100:103], v88, s[10:11] offset:48
	global_load_dwordx4 v[116:119], v88, s[10:11] offset:32
	;; [unrolled: 1-line block ×3, first 2 shown]
	global_load_dwordx4 v[144:147], v88, s[10:11]
	s_waitcnt vmcnt(0)
	v_mul_f64 v[88:89], v[86:87], v[146:147]
	v_fma_f64 v[142:143], v[84:85], v[144:145], -v[88:89]
	buffer_store_dword v144, off, s[36:39], 0 offset:768 ; 4-byte Folded Spill
	s_nop 0
	buffer_store_dword v145, off, s[36:39], 0 offset:772 ; 4-byte Folded Spill
	buffer_store_dword v146, off, s[36:39], 0 offset:776 ; 4-byte Folded Spill
	;; [unrolled: 1-line block ×3, first 2 shown]
	v_mul_f64 v[136:137], v[84:85], v[146:147]
	v_fmac_f64_e32 v[136:137], v[86:87], v[144:145]
	v_pk_mov_b32 v[86:87], v[138:139], v[138:139] op_sel:[0,1]
	v_pk_mov_b32 v[88:89], v[140:141], v[140:141] op_sel:[0,1]
	buffer_store_dword v86, off, s[36:39], 0 offset:752 ; 4-byte Folded Spill
	s_nop 0
	buffer_store_dword v87, off, s[36:39], 0 offset:756 ; 4-byte Folded Spill
	buffer_store_dword v88, off, s[36:39], 0 offset:760 ; 4-byte Folded Spill
	buffer_store_dword v89, off, s[36:39], 0 offset:764 ; 4-byte Folded Spill
	buffer_store_dword v116, off, s[36:39], 0 offset:736 ; 4-byte Folded Spill
	s_nop 0
	buffer_store_dword v117, off, s[36:39], 0 offset:740 ; 4-byte Folded Spill
	buffer_store_dword v118, off, s[36:39], 0 offset:744 ; 4-byte Folded Spill
	buffer_store_dword v119, off, s[36:39], 0 offset:748 ; 4-byte Folded Spill
	;; [unrolled: 5-line block ×3, first 2 shown]
	v_mul_f64 v[84:85], v[82:83], v[88:89]
	v_fma_f64 v[144:145], v[80:81], v[86:87], -v[84:85]
	v_mul_f64 v[138:139], v[80:81], v[88:89]
	v_mul_f64 v[80:81], v[78:79], v[118:119]
	v_fma_f64 v[148:149], v[76:77], v[116:117], -v[80:81]
	v_mul_f64 v[140:141], v[76:77], v[118:119]
	v_mul_f64 v[76:77], v[74:75], v[102:103]
	v_fmac_f64_e32 v[140:141], v[78:79], v[116:117]
	v_fma_f64 v[78:79], v[72:73], v[100:101], -v[76:77]
	v_mul_f64 v[72:73], v[72:73], v[102:103]
	v_fmac_f64_e32 v[72:73], v[74:75], v[100:101]
	v_mul_u32_u24_sdwa v74, v190, s2 dst_sel:DWORD dst_unused:UNUSED_PAD src0_sel:WORD_0 src1_sel:DWORD
	v_lshrrev_b32_e32 v203, 19, v74
	v_mul_lo_u16_e32 v74, 10, v203
	v_sub_u16_e32 v205, v190, v74
	v_lshlrev_b16_e32 v74, 2, v205
	v_lshlrev_b32_e32 v74, 4, v74
	v_fmac_f64_e32 v[138:139], v[82:83], v[86:87]
	global_load_dwordx4 v[80:83], v74, s[10:11] offset:48
	global_load_dwordx4 v[84:87], v74, s[10:11] offset:32
	;; [unrolled: 1-line block ×3, first 2 shown]
	global_load_dwordx4 v[100:103], v74, s[10:11]
	s_waitcnt vmcnt(0) lgkmcnt(13)
	v_mul_f64 v[74:75], v[70:71], v[102:103]
	v_fma_f64 v[152:153], v[68:69], v[100:101], -v[74:75]
	buffer_store_dword v100, off, s[36:39], 0 offset:784 ; 4-byte Folded Spill
	s_nop 0
	buffer_store_dword v101, off, s[36:39], 0 offset:788 ; 4-byte Folded Spill
	buffer_store_dword v102, off, s[36:39], 0 offset:792 ; 4-byte Folded Spill
	buffer_store_dword v103, off, s[36:39], 0 offset:796 ; 4-byte Folded Spill
	buffer_store_dword v88, off, s[36:39], 0 offset:800 ; 4-byte Folded Spill
	s_nop 0
	buffer_store_dword v89, off, s[36:39], 0 offset:804 ; 4-byte Folded Spill
	buffer_store_dword v90, off, s[36:39], 0 offset:808 ; 4-byte Folded Spill
	buffer_store_dword v91, off, s[36:39], 0 offset:812 ; 4-byte Folded Spill
	;; [unrolled: 5-line block ×4, first 2 shown]
	v_mul_f64 v[146:147], v[68:69], v[102:103]
	s_waitcnt lgkmcnt(12)
	v_mul_f64 v[68:69], v[66:67], v[90:91]
	v_fma_f64 v[156:157], v[64:65], v[88:89], -v[68:69]
	v_mul_f64 v[150:151], v[64:65], v[90:91]
	s_waitcnt lgkmcnt(11)
	v_mul_f64 v[64:65], v[62:63], v[86:87]
	v_fma_f64 v[158:159], v[60:61], v[84:85], -v[64:65]
	v_mul_f64 v[154:155], v[60:61], v[86:87]
	s_waitcnt lgkmcnt(10)
	v_mul_f64 v[60:61], v[58:59], v[82:83]
	v_fmac_f64_e32 v[154:155], v[62:63], v[84:85]
	v_fma_f64 v[62:63], v[56:57], v[80:81], -v[60:61]
	v_mul_f64 v[56:57], v[56:57], v[82:83]
	v_fmac_f64_e32 v[56:57], v[58:59], v[80:81]
	v_mul_u32_u24_sdwa v58, v191, s2 dst_sel:DWORD dst_unused:UNUSED_PAD src0_sel:WORD_0 src1_sel:DWORD
	v_lshrrev_b32_e32 v199, 19, v58
	v_mul_lo_u16_e32 v58, 10, v199
	v_sub_u16_e32 v200, v191, v58
	v_lshlrev_b16_e32 v58, 2, v200
	v_lshlrev_b32_e32 v58, 4, v58
	v_fmac_f64_e32 v[146:147], v[70:71], v[100:101]
	v_fmac_f64_e32 v[150:151], v[66:67], v[88:89]
	global_load_dwordx4 v[64:67], v58, s[10:11] offset:48
	global_load_dwordx4 v[68:71], v58, s[10:11] offset:32
	;; [unrolled: 1-line block ×3, first 2 shown]
	global_load_dwordx4 v[80:83], v58, s[10:11]
	s_waitcnt vmcnt(3)
	v_accvgpr_write_b32 a203, v67
	s_waitcnt vmcnt(2) lgkmcnt(6)
	v_mul_f64 v[166:167], v[44:45], v[70:71]
	s_waitcnt vmcnt(1)
	v_mul_f64 v[162:163], v[48:49], v[76:77]
	s_waitcnt vmcnt(0)
	v_mul_f64 v[58:59], v[54:55], v[82:83]
	v_fma_f64 v[164:165], v[52:53], v[80:81], -v[58:59]
	buffer_store_dword v80, off, s[36:39], 0 offset:848 ; 4-byte Folded Spill
	s_nop 0
	buffer_store_dword v81, off, s[36:39], 0 offset:852 ; 4-byte Folded Spill
	buffer_store_dword v82, off, s[36:39], 0 offset:856 ; 4-byte Folded Spill
	;; [unrolled: 1-line block ×3, first 2 shown]
	v_fmac_f64_e32 v[166:167], v[46:47], v[68:69]
	v_fmac_f64_e32 v[162:163], v[50:51], v[74:75]
	v_accvgpr_write_b32 a202, v66
	v_accvgpr_write_b32 a201, v65
	;; [unrolled: 1-line block ×11, first 2 shown]
	v_mul_f64 v[160:161], v[52:53], v[82:83]
	v_mul_f64 v[52:53], v[50:51], v[76:77]
	v_fma_f64 v[168:169], v[48:49], v[74:75], -v[52:53]
	v_mul_f64 v[48:49], v[46:47], v[70:71]
	v_fma_f64 v[170:171], v[44:45], v[68:69], -v[48:49]
	s_waitcnt lgkmcnt(5)
	v_mul_f64 v[44:45], v[42:43], v[66:67]
	v_fma_f64 v[46:47], v[40:41], v[64:65], -v[44:45]
	v_mul_f64 v[40:41], v[40:41], v[66:67]
	v_fmac_f64_e32 v[40:41], v[42:43], v[64:65]
	v_mul_u32_u24_sdwa v42, v192, s2 dst_sel:DWORD dst_unused:UNUSED_PAD src0_sel:WORD_0 src1_sel:DWORD
	v_lshrrev_b32_e32 v197, 19, v42
	v_mul_lo_u16_e32 v42, 10, v197
	v_sub_u16_e32 v198, v192, v42
	v_lshlrev_b16_e32 v42, 2, v198
	v_lshlrev_b32_e32 v42, 4, v42
	v_fmac_f64_e32 v[160:161], v[54:55], v[80:81]
	global_load_dwordx4 v[48:51], v42, s[10:11] offset:48
	global_load_dwordx4 v[52:55], v42, s[10:11] offset:32
	;; [unrolled: 1-line block ×3, first 2 shown]
	global_load_dwordx4 v[64:67], v42, s[10:11]
	s_waitcnt lgkmcnt(0)
	s_barrier
	s_mov_b32 s2, 0xe8584caa
	s_mov_b32 s3, 0x3febb67a
	;; [unrolled: 1-line block ×3, first 2 shown]
	s_waitcnt vmcnt(3)
	v_mul_f64 v[182:183], v[24:25], v[50:51]
	s_waitcnt vmcnt(2)
	v_mul_f64 v[178:179], v[28:29], v[54:55]
	;; [unrolled: 2-line block ×4, first 2 shown]
	v_fma_f64 v[176:177], v[36:37], v[64:65], -v[42:43]
	v_mul_f64 v[172:173], v[36:37], v[66:67]
	v_mul_f64 v[36:37], v[34:35], v[60:61]
	v_fma_f64 v[180:181], v[32:33], v[58:59], -v[36:37]
	v_mul_f64 v[32:33], v[30:31], v[54:55]
	v_fma_f64 v[184:185], v[28:29], v[52:53], -v[32:33]
	v_mul_f64 v[28:29], v[26:27], v[50:51]
	v_fmac_f64_e32 v[178:179], v[30:31], v[52:53]
	v_fma_f64 v[30:31], v[24:25], v[48:49], -v[28:29]
	v_add_f64 v[24:25], v[20:21], v[122:123]
	v_add_f64 v[24:25], v[24:25], v[124:125]
	;; [unrolled: 1-line block ×5, first 2 shown]
	v_fma_f64 v[88:89], -0.5, v[24:25], v[20:21]
	v_add_f64 v[24:25], v[120:121], -v[104:105]
	v_fmac_f64_e32 v[182:183], v[26:27], v[48:49]
	v_fma_f64 v[108:109], s[6:7], v[24:25], v[88:89]
	v_add_f64 v[26:27], v[112:113], -v[114:115]
	v_add_f64 v[28:29], v[122:123], -v[124:125]
	v_add_f64 v[32:33], v[110:111], -v[126:127]
	v_fmac_f64_e32 v[88:89], s[16:17], v[24:25]
	v_fmac_f64_e32 v[108:109], s[8:9], v[26:27]
	v_add_f64 v[28:29], v[28:29], v[32:33]
	v_fmac_f64_e32 v[88:89], s[18:19], v[26:27]
	v_fmac_f64_e32 v[108:109], s[14:15], v[28:29]
	v_fmac_f64_e32 v[88:89], s[14:15], v[28:29]
	v_add_f64 v[28:29], v[122:123], v[110:111]
	v_fmac_f64_e32 v[20:21], -0.5, v[28:29]
	v_fma_f64 v[100:101], s[16:17], v[26:27], v[20:21]
	v_fmac_f64_e32 v[20:21], s[6:7], v[26:27]
	v_fmac_f64_e32 v[100:101], s[8:9], v[24:25]
	v_fmac_f64_e32 v[20:21], s[18:19], v[24:25]
	v_add_f64 v[24:25], v[22:23], v[120:121]
	v_add_f64 v[24:25], v[24:25], v[112:113]
	v_add_f64 v[24:25], v[24:25], v[114:115]
	v_add_f64 v[28:29], v[124:125], -v[122:123]
	v_add_f64 v[32:33], v[126:127], -v[110:111]
	v_add_f64 v[118:119], v[24:25], v[104:105]
	v_add_f64 v[24:25], v[112:113], v[114:115]
	v_add_f64 v[28:29], v[28:29], v[32:33]
	v_fma_f64 v[90:91], -0.5, v[24:25], v[22:23]
	v_add_f64 v[24:25], v[122:123], -v[110:111]
	v_fmac_f64_e32 v[100:101], s[14:15], v[28:29]
	v_fmac_f64_e32 v[20:21], s[14:15], v[28:29]
	v_fma_f64 v[110:111], s[16:17], v[24:25], v[90:91]
	v_add_f64 v[26:27], v[124:125], -v[126:127]
	v_add_f64 v[28:29], v[120:121], -v[112:113]
	v_add_f64 v[32:33], v[104:105], -v[114:115]
	v_fmac_f64_e32 v[90:91], s[6:7], v[24:25]
	v_fmac_f64_e32 v[110:111], s[18:19], v[26:27]
	v_add_f64 v[28:29], v[28:29], v[32:33]
	v_fmac_f64_e32 v[90:91], s[8:9], v[26:27]
	v_fmac_f64_e32 v[110:111], s[14:15], v[28:29]
	v_fmac_f64_e32 v[90:91], s[14:15], v[28:29]
	v_add_f64 v[28:29], v[120:121], v[104:105]
	v_fmac_f64_e32 v[22:23], -0.5, v[28:29]
	v_fma_f64 v[102:103], s[6:7], v[26:27], v[22:23]
	v_fmac_f64_e32 v[22:23], s[16:17], v[26:27]
	v_fmac_f64_e32 v[102:103], s[18:19], v[24:25]
	v_fmac_f64_e32 v[22:23], s[8:9], v[24:25]
	v_add_f64 v[24:25], v[16:17], v[106:107]
	v_add_f64 v[24:25], v[24:25], v[132:133]
	v_add_f64 v[24:25], v[24:25], v[98:99]
	v_add_f64 v[28:29], v[112:113], -v[120:121]
	v_add_f64 v[32:33], v[114:115], -v[104:105]
	v_add_f64 v[112:113], v[24:25], v[134:135]
	v_add_f64 v[24:25], v[132:133], v[98:99]
	v_add_f64 v[28:29], v[28:29], v[32:33]
	v_fma_f64 v[84:85], -0.5, v[24:25], v[16:17]
	v_add_f64 v[24:25], v[128:129], -v[94:95]
	v_fmac_f64_e32 v[102:103], s[14:15], v[28:29]
	;; [unrolled: 28-line block ×5, first 2 shown]
	v_fmac_f64_e32 v[12:13], s[14:15], v[28:29]
	v_fma_f64 v[82:83], s[16:17], v[24:25], v[70:71]
	v_add_f64 v[26:27], v[144:145], -v[148:149]
	v_add_f64 v[28:29], v[136:137], -v[138:139]
	;; [unrolled: 1-line block ×3, first 2 shown]
	v_fmac_f64_e32 v[70:71], s[6:7], v[24:25]
	v_fmac_f64_e32 v[82:83], s[18:19], v[26:27]
	v_add_f64 v[28:29], v[28:29], v[32:33]
	v_fmac_f64_e32 v[70:71], s[8:9], v[26:27]
	v_fmac_f64_e32 v[82:83], s[14:15], v[28:29]
	;; [unrolled: 1-line block ×3, first 2 shown]
	v_add_f64 v[28:29], v[136:137], v[72:73]
	v_fmac_f64_e32 v[14:15], -0.5, v[28:29]
	v_fma_f64 v[78:79], s[6:7], v[26:27], v[14:15]
	v_fmac_f64_e32 v[14:15], s[16:17], v[26:27]
	v_fmac_f64_e32 v[78:79], s[18:19], v[24:25]
	;; [unrolled: 1-line block ×3, first 2 shown]
	v_add_f64 v[24:25], v[8:9], v[152:153]
	v_add_f64 v[24:25], v[24:25], v[156:157]
	;; [unrolled: 1-line block ×3, first 2 shown]
	v_accvgpr_write_b32 a215, v55
	v_add_f64 v[28:29], v[138:139], -v[136:137]
	v_add_f64 v[32:33], v[140:141], -v[72:73]
	v_add_f64 v[72:73], v[24:25], v[62:63]
	v_add_f64 v[24:25], v[156:157], v[158:159]
	v_accvgpr_write_b32 a207, v67
	v_accvgpr_write_b32 a214, v54
	;; [unrolled: 1-line block ×4, first 2 shown]
	v_add_f64 v[28:29], v[28:29], v[32:33]
	v_fma_f64 v[52:53], -0.5, v[24:25], v[8:9]
	v_add_f64 v[24:25], v[146:147], -v[56:57]
	v_fmac_f64_e32 v[172:173], v[38:39], v[64:65]
	v_accvgpr_write_b32 a206, v66
	v_accvgpr_write_b32 a205, v65
	;; [unrolled: 1-line block ×3, first 2 shown]
	v_fmac_f64_e32 v[78:79], s[14:15], v[28:29]
	v_fmac_f64_e32 v[14:15], s[14:15], v[28:29]
	v_fma_f64 v[64:65], s[6:7], v[24:25], v[52:53]
	v_add_f64 v[26:27], v[150:151], -v[154:155]
	v_add_f64 v[28:29], v[152:153], -v[156:157]
	;; [unrolled: 1-line block ×3, first 2 shown]
	v_fmac_f64_e32 v[52:53], s[16:17], v[24:25]
	v_fmac_f64_e32 v[64:65], s[8:9], v[26:27]
	v_add_f64 v[28:29], v[28:29], v[32:33]
	v_fmac_f64_e32 v[52:53], s[18:19], v[26:27]
	v_fmac_f64_e32 v[64:65], s[14:15], v[28:29]
	;; [unrolled: 1-line block ×3, first 2 shown]
	v_add_f64 v[28:29], v[152:153], v[62:63]
	v_accvgpr_write_b32 a211, v61
	v_fmac_f64_e32 v[8:9], -0.5, v[28:29]
	v_accvgpr_write_b32 a210, v60
	v_accvgpr_write_b32 a209, v59
	;; [unrolled: 1-line block ×3, first 2 shown]
	v_fma_f64 v[60:61], s[16:17], v[26:27], v[8:9]
	v_fmac_f64_e32 v[8:9], s[6:7], v[26:27]
	v_fmac_f64_e32 v[60:61], s[8:9], v[24:25]
	;; [unrolled: 1-line block ×3, first 2 shown]
	v_add_f64 v[24:25], v[10:11], v[146:147]
	v_add_f64 v[24:25], v[24:25], v[150:151]
	v_add_f64 v[24:25], v[24:25], v[154:155]
	v_add_f64 v[28:29], v[156:157], -v[152:153]
	v_add_f64 v[32:33], v[158:159], -v[62:63]
	v_add_f64 v[74:75], v[24:25], v[56:57]
	v_add_f64 v[24:25], v[150:151], v[154:155]
	;; [unrolled: 1-line block ×3, first 2 shown]
	v_fma_f64 v[54:55], -0.5, v[24:25], v[10:11]
	v_add_f64 v[24:25], v[152:153], -v[62:63]
	v_fmac_f64_e32 v[60:61], s[14:15], v[28:29]
	v_fmac_f64_e32 v[8:9], s[14:15], v[28:29]
	v_fma_f64 v[66:67], s[16:17], v[24:25], v[54:55]
	v_add_f64 v[26:27], v[156:157], -v[158:159]
	v_add_f64 v[28:29], v[146:147], -v[150:151]
	;; [unrolled: 1-line block ×3, first 2 shown]
	v_fmac_f64_e32 v[54:55], s[6:7], v[24:25]
	v_fmac_f64_e32 v[66:67], s[18:19], v[26:27]
	v_add_f64 v[28:29], v[28:29], v[32:33]
	v_fmac_f64_e32 v[54:55], s[8:9], v[26:27]
	v_fmac_f64_e32 v[66:67], s[14:15], v[28:29]
	;; [unrolled: 1-line block ×3, first 2 shown]
	v_add_f64 v[28:29], v[146:147], v[56:57]
	v_fmac_f64_e32 v[10:11], -0.5, v[28:29]
	v_fma_f64 v[62:63], s[6:7], v[26:27], v[10:11]
	v_fmac_f64_e32 v[10:11], s[16:17], v[26:27]
	v_fmac_f64_e32 v[62:63], s[18:19], v[24:25]
	v_fmac_f64_e32 v[10:11], s[8:9], v[24:25]
	v_add_f64 v[24:25], v[4:5], v[164:165]
	v_add_f64 v[24:25], v[24:25], v[168:169]
	;; [unrolled: 1-line block ×3, first 2 shown]
	v_add_f64 v[28:29], v[150:151], -v[146:147]
	v_add_f64 v[32:33], v[154:155], -v[56:57]
	v_add_f64 v[56:57], v[24:25], v[46:47]
	v_add_f64 v[24:25], v[168:169], v[170:171]
	v_accvgpr_write_b32 a219, v51
	v_add_f64 v[28:29], v[28:29], v[32:33]
	v_fma_f64 v[36:37], -0.5, v[24:25], v[4:5]
	v_add_f64 v[24:25], v[160:161], -v[40:41]
	v_accvgpr_write_b32 a218, v50
	v_accvgpr_write_b32 a217, v49
	;; [unrolled: 1-line block ×3, first 2 shown]
	v_fmac_f64_e32 v[62:63], s[14:15], v[28:29]
	v_fmac_f64_e32 v[10:11], s[14:15], v[28:29]
	v_fma_f64 v[48:49], s[6:7], v[24:25], v[36:37]
	v_add_f64 v[26:27], v[162:163], -v[166:167]
	v_add_f64 v[28:29], v[164:165], -v[168:169]
	;; [unrolled: 1-line block ×3, first 2 shown]
	v_fmac_f64_e32 v[36:37], s[16:17], v[24:25]
	v_fmac_f64_e32 v[48:49], s[8:9], v[26:27]
	v_add_f64 v[28:29], v[28:29], v[32:33]
	v_fmac_f64_e32 v[36:37], s[18:19], v[26:27]
	v_fmac_f64_e32 v[48:49], s[14:15], v[28:29]
	;; [unrolled: 1-line block ×3, first 2 shown]
	v_add_f64 v[28:29], v[164:165], v[46:47]
	v_fmac_f64_e32 v[4:5], -0.5, v[28:29]
	v_fma_f64 v[44:45], s[16:17], v[26:27], v[4:5]
	v_fmac_f64_e32 v[4:5], s[6:7], v[26:27]
	v_fmac_f64_e32 v[44:45], s[8:9], v[24:25]
	;; [unrolled: 1-line block ×3, first 2 shown]
	v_add_f64 v[24:25], v[6:7], v[160:161]
	v_add_f64 v[24:25], v[24:25], v[162:163]
	;; [unrolled: 1-line block ×3, first 2 shown]
	v_fmac_f64_e32 v[174:175], v[34:35], v[58:59]
	v_add_f64 v[28:29], v[168:169], -v[164:165]
	v_add_f64 v[32:33], v[170:171], -v[46:47]
	v_add_f64 v[58:59], v[24:25], v[40:41]
	v_add_f64 v[24:25], v[162:163], v[166:167]
	;; [unrolled: 1-line block ×3, first 2 shown]
	v_fma_f64 v[38:39], -0.5, v[24:25], v[6:7]
	v_add_f64 v[24:25], v[164:165], -v[46:47]
	v_fmac_f64_e32 v[44:45], s[14:15], v[28:29]
	v_fmac_f64_e32 v[4:5], s[14:15], v[28:29]
	v_fma_f64 v[50:51], s[16:17], v[24:25], v[38:39]
	v_add_f64 v[26:27], v[168:169], -v[170:171]
	v_add_f64 v[28:29], v[160:161], -v[162:163]
	;; [unrolled: 1-line block ×3, first 2 shown]
	v_fmac_f64_e32 v[38:39], s[6:7], v[24:25]
	v_fmac_f64_e32 v[50:51], s[18:19], v[26:27]
	v_add_f64 v[28:29], v[28:29], v[32:33]
	v_fmac_f64_e32 v[38:39], s[8:9], v[26:27]
	v_fmac_f64_e32 v[50:51], s[14:15], v[28:29]
	;; [unrolled: 1-line block ×3, first 2 shown]
	v_add_f64 v[28:29], v[160:161], v[40:41]
	v_fmac_f64_e32 v[6:7], -0.5, v[28:29]
	v_fma_f64 v[46:47], s[6:7], v[26:27], v[6:7]
	v_fmac_f64_e32 v[6:7], s[16:17], v[26:27]
	v_fmac_f64_e32 v[46:47], s[18:19], v[24:25]
	;; [unrolled: 1-line block ×3, first 2 shown]
	v_add_f64 v[24:25], v[0:1], v[176:177]
	v_add_f64 v[24:25], v[24:25], v[180:181]
	;; [unrolled: 1-line block ×3, first 2 shown]
	v_add_f64 v[28:29], v[162:163], -v[160:161]
	v_add_f64 v[32:33], v[166:167], -v[40:41]
	v_add_f64 v[40:41], v[24:25], v[30:31]
	v_add_f64 v[24:25], v[180:181], v[184:185]
	;; [unrolled: 1-line block ×3, first 2 shown]
	v_fma_f64 v[24:25], -0.5, v[24:25], v[0:1]
	v_add_f64 v[26:27], v[172:173], -v[182:183]
	v_fmac_f64_e32 v[46:47], s[14:15], v[28:29]
	v_fmac_f64_e32 v[6:7], s[14:15], v[28:29]
	v_fma_f64 v[32:33], s[6:7], v[26:27], v[24:25]
	v_add_f64 v[34:35], v[174:175], -v[178:179]
	v_add_f64 v[28:29], v[176:177], -v[180:181]
	;; [unrolled: 1-line block ×3, first 2 shown]
	v_fmac_f64_e32 v[24:25], s[16:17], v[26:27]
	v_fmac_f64_e32 v[32:33], s[8:9], v[34:35]
	v_add_f64 v[28:29], v[28:29], v[42:43]
	v_fmac_f64_e32 v[24:25], s[18:19], v[34:35]
	v_fmac_f64_e32 v[32:33], s[14:15], v[28:29]
	;; [unrolled: 1-line block ×3, first 2 shown]
	v_add_f64 v[28:29], v[176:177], v[30:31]
	v_fmac_f64_e32 v[0:1], -0.5, v[28:29]
	v_fma_f64 v[28:29], s[16:17], v[34:35], v[0:1]
	v_fmac_f64_e32 v[0:1], s[6:7], v[34:35]
	v_fmac_f64_e32 v[28:29], s[8:9], v[26:27]
	;; [unrolled: 1-line block ×3, first 2 shown]
	v_add_f64 v[26:27], v[2:3], v[172:173]
	v_add_f64 v[42:43], v[180:181], -v[176:177]
	v_add_f64 v[120:121], v[184:185], -v[30:31]
	v_add_f64 v[26:27], v[26:27], v[174:175]
	v_add_f64 v[42:43], v[42:43], v[120:121]
	;; [unrolled: 1-line block ×3, first 2 shown]
	v_fmac_f64_e32 v[28:29], s[14:15], v[42:43]
	v_fmac_f64_e32 v[0:1], s[14:15], v[42:43]
	v_add_f64 v[42:43], v[26:27], v[182:183]
	v_add_f64 v[26:27], v[174:175], v[178:179]
	v_fma_f64 v[26:27], -0.5, v[26:27], v[2:3]
	v_add_f64 v[120:121], v[176:177], -v[30:31]
	v_fma_f64 v[34:35], s[16:17], v[120:121], v[26:27]
	v_add_f64 v[122:123], v[180:181], -v[184:185]
	v_add_f64 v[30:31], v[172:173], -v[174:175]
	;; [unrolled: 1-line block ×3, first 2 shown]
	v_fmac_f64_e32 v[26:27], s[6:7], v[120:121]
	v_fmac_f64_e32 v[34:35], s[18:19], v[122:123]
	v_add_f64 v[30:31], v[30:31], v[124:125]
	v_fmac_f64_e32 v[26:27], s[8:9], v[122:123]
	v_fmac_f64_e32 v[34:35], s[14:15], v[30:31]
	;; [unrolled: 1-line block ×3, first 2 shown]
	v_add_f64 v[30:31], v[172:173], v[182:183]
	v_fmac_f64_e32 v[2:3], -0.5, v[30:31]
	v_fma_f64 v[30:31], s[6:7], v[122:123], v[2:3]
	v_fmac_f64_e32 v[2:3], s[16:17], v[122:123]
	v_fmac_f64_e32 v[30:31], s[18:19], v[120:121]
	v_fmac_f64_e32 v[2:3], s[8:9], v[120:121]
	v_mul_u32_u24_e32 v120, 50, v207
	v_add_lshl_u32 v120, v120, v208, 4
	ds_write_b128 v120, v[116:119]
	buffer_store_dword v120, off, s[36:39], 0 offset:4 ; 4-byte Folded Spill
	ds_write_b128 v120, v[108:111] offset:160
	ds_write_b128 v120, v[100:103] offset:320
	;; [unrolled: 1-line block ×4, first 2 shown]
	v_mad_legacy_u16 v20, v204, 50, v206
	v_lshlrev_b32_e32 v20, 4, v20
	ds_write_b128 v20, v[112:115]
	buffer_store_dword v20, off, s[36:39], 0 offset:188 ; 4-byte Folded Spill
	ds_write_b128 v20, v[104:107] offset:160
	ds_write_b128 v20, v[96:99] offset:320
	;; [unrolled: 1-line block ×4, first 2 shown]
	v_mad_legacy_u16 v16, v201, 50, v202
	v_lshlrev_b32_e32 v16, 4, v16
	v_mov_b32_e32 v120, 41
	ds_write_b128 v16, v[92:95]
	buffer_store_dword v16, off, s[36:39], 0 offset:192 ; 4-byte Folded Spill
	ds_write_b128 v16, v[80:83] offset:160
	ds_write_b128 v16, v[76:79] offset:320
	;; [unrolled: 1-line block ×4, first 2 shown]
	v_mad_legacy_u16 v12, v203, 50, v205
	v_mul_lo_u16_sdwa v120, v209, v120 dst_sel:DWORD dst_unused:UNUSED_PAD src0_sel:BYTE_0 src1_sel:DWORD
	v_lshlrev_b32_e32 v12, 4, v12
	v_lshrrev_b16_e32 v214, 11, v120
	ds_write_b128 v12, v[72:75]
	buffer_store_dword v12, off, s[36:39], 0 offset:8 ; 4-byte Folded Spill
	ds_write_b128 v12, v[64:67] offset:160
	ds_write_b128 v12, v[60:63] offset:320
	ds_write_b128 v12, v[8:11] offset:480
	ds_write_b128 v12, v[52:55] offset:640
	v_mad_legacy_u16 v8, v199, 50, v200
	v_mul_lo_u16_e32 v120, 50, v214
	v_add_f64 v[124:125], v[174:175], -v[172:173]
	v_add_f64 v[126:127], v[178:179], -v[182:183]
	v_lshlrev_b32_e32 v8, 4, v8
	v_sub_u16_e32 v120, v209, v120
	v_add_f64 v[124:125], v[124:125], v[126:127]
	ds_write_b128 v8, v[56:59]
	buffer_store_dword v8, off, s[36:39], 0 offset:580 ; 4-byte Folded Spill
	ds_write_b128 v8, v[48:51] offset:160
	ds_write_b128 v8, v[44:47] offset:320
	ds_write_b128 v8, v[4:7] offset:480
	ds_write_b128 v8, v[36:39] offset:640
	v_mad_legacy_u16 v4, v197, 50, v198
	v_and_b32_e32 v215, 0xff, v120
	v_fmac_f64_e32 v[30:31], s[14:15], v[124:125]
	v_fmac_f64_e32 v[2:3], s[14:15], v[124:125]
	v_lshlrev_b32_e32 v4, 4, v4
	v_lshlrev_b32_e32 v120, 5, v215
	ds_write_b128 v4, v[40:43]
	buffer_store_dword v4, off, s[36:39], 0 offset:668 ; 4-byte Folded Spill
	ds_write_b128 v4, v[32:35] offset:160
	ds_write_b128 v4, v[28:31] offset:320
	ds_write_b128 v4, v[0:3] offset:480
	ds_write_b128 v4, v[24:27] offset:640
	s_waitcnt lgkmcnt(0)
	s_barrier
	ds_read_b128 v[36:39], v187
	ds_read_b128 v[116:119], v187 offset:21600
	ds_read_b128 v[112:115], v187 offset:43200
	ds_read_b128 v[32:35], v187 offset:2160
	ds_read_b128 v[108:111], v187 offset:23760
	ds_read_b128 v[104:107], v187 offset:45360
	ds_read_b128 v[28:31], v187 offset:4320
	ds_read_b128 v[100:103], v187 offset:25920
	ds_read_b128 v[96:99], v187 offset:47520
	ds_read_b128 v[24:27], v187 offset:6480
	ds_read_b128 v[92:95], v187 offset:28080
	ds_read_b128 v[88:91], v187 offset:49680
	ds_read_b128 v[20:23], v187 offset:8640
	ds_read_b128 v[84:87], v187 offset:30240
	ds_read_b128 v[80:83], v187 offset:51840
	ds_read_b128 v[16:19], v187 offset:10800
	ds_read_b128 v[76:79], v187 offset:32400
	ds_read_b128 v[72:75], v187 offset:54000
	ds_read_b128 v[12:15], v187 offset:12960
	ds_read_b128 v[68:71], v187 offset:34560
	ds_read_b128 v[64:67], v187 offset:56160
	ds_read_b128 v[8:11], v187 offset:15120
	ds_read_b128 v[60:63], v187 offset:36720
	ds_read_b128 v[56:59], v187 offset:58320
	ds_read_b128 v[4:7], v187 offset:17280
	ds_read_b128 v[52:55], v187 offset:38880
	ds_read_b128 v[48:51], v187 offset:60480
	ds_read_b128 v[0:3], v187 offset:19440
	ds_read_b128 v[44:47], v187 offset:41040
	ds_read_b128 v[40:43], v187 offset:62640
	global_load_dwordx4 v[124:127], v120, s[10:11] offset:656
	global_load_dwordx4 v[128:131], v120, s[10:11] offset:640
	v_lshrrev_b16_e32 v176, 1, v195
	v_lshrrev_b16_e32 v177, 1, v190
	;; [unrolled: 1-line block ×8, first 2 shown]
	v_mov_b32_e32 v185, v243
	v_mov_b32_e32 v184, v241
	s_waitcnt vmcnt(0) lgkmcnt(14)
	v_mul_f64 v[120:121], v[118:119], v[130:131]
	v_mul_f64 v[122:123], v[116:117], v[130:131]
	v_accvgpr_write_b32 a227, v131
	v_fma_f64 v[120:121], v[116:117], v[128:129], -v[120:121]
	v_fmac_f64_e32 v[122:123], v[118:119], v[128:129]
	v_accvgpr_write_b32 a226, v130
	v_accvgpr_write_b32 a225, v129
	;; [unrolled: 1-line block ×3, first 2 shown]
	v_pk_mov_b32 v[128:129], v[126:127], v[126:127] op_sel:[0,1]
	v_pk_mov_b32 v[126:127], v[124:125], v[124:125] op_sel:[0,1]
	v_mul_f64 v[116:117], v[114:115], v[128:129]
	v_fma_f64 v[124:125], v[112:113], v[126:127], -v[116:117]
	v_mul_f64 v[112:113], v[112:113], v[128:129]
	v_fmac_f64_e32 v[112:113], v[114:115], v[126:127]
	v_lshrrev_b16_e32 v114, 1, v194
	v_accvgpr_write_b32 a231, v129
	v_mul_u32_u24_e32 v114, 0x147b, v114
	v_accvgpr_write_b32 a230, v128
	v_accvgpr_write_b32 a229, v127
	;; [unrolled: 1-line block ×3, first 2 shown]
	v_lshrrev_b32_e32 v127, 17, v114
	v_mul_lo_u16_e32 v114, 50, v127
	v_sub_u16_e32 v178, v194, v114
	v_lshlrev_b16_e32 v114, 5, v178
	v_add_co_u32_e32 v114, vcc, s10, v114
	v_mov_b32_e32 v126, s11
	v_addc_co_u32_e32 v115, vcc, 0, v126, vcc
	global_load_dwordx4 v[116:119], v[114:115], off offset:656
	global_load_dwordx4 v[130:133], v[114:115], off offset:640
	s_waitcnt vmcnt(1)
	v_accvgpr_write_b32 a239, v119
	s_waitcnt vmcnt(0)
	v_mul_f64 v[114:115], v[110:111], v[132:133]
	v_fma_f64 v[174:175], v[108:109], v[130:131], -v[114:115]
	v_mul_f64 v[128:129], v[108:109], v[132:133]
	v_accvgpr_write_b32 a235, v133
	v_mul_f64 v[108:109], v[106:107], v[118:119]
	v_fmac_f64_e32 v[128:129], v[110:111], v[130:131]
	v_accvgpr_write_b32 a234, v132
	v_accvgpr_write_b32 a233, v131
	;; [unrolled: 1-line block ×3, first 2 shown]
	v_fma_f64 v[130:131], v[104:105], v[116:117], -v[108:109]
	v_mul_f64 v[132:133], v[104:105], v[118:119]
	v_mul_u32_u24_e32 v104, 0x147b, v176
	v_lshrrev_b32_e32 v198, 17, v104
	v_mul_lo_u16_e32 v104, 50, v198
	v_sub_u16_e32 v199, v195, v104
	v_lshlrev_b16_e32 v104, 5, v199
	v_add_co_u32_e32 v104, vcc, s10, v104
	v_addc_co_u32_e32 v105, vcc, 0, v126, vcc
	v_fmac_f64_e32 v[132:133], v[106:107], v[116:117]
	v_accvgpr_write_b32 a238, v118
	v_accvgpr_write_b32 a237, v117
	;; [unrolled: 1-line block ×3, first 2 shown]
	global_load_dwordx4 v[106:109], v[104:105], off offset:656
	global_load_dwordx4 v[114:117], v[104:105], off offset:640
	s_waitcnt vmcnt(1)
	v_mul_f64 v[140:141], v[96:97], v[108:109]
	s_waitcnt vmcnt(0)
	v_mul_f64 v[104:105], v[102:103], v[116:117]
	v_fma_f64 v[134:135], v[100:101], v[114:115], -v[104:105]
	v_mul_f64 v[136:137], v[100:101], v[116:117]
	v_mul_f64 v[100:101], v[98:99], v[108:109]
	v_fma_f64 v[138:139], v[96:97], v[106:107], -v[100:101]
	v_mul_u32_u24_e32 v96, 0x147b, v177
	v_lshrrev_b32_e32 v201, 17, v96
	v_mul_lo_u16_e32 v96, 50, v201
	v_sub_u16_e32 v203, v190, v96
	v_lshlrev_b16_e32 v96, 5, v203
	v_add_co_u32_e32 v96, vcc, s10, v96
	v_addc_co_u32_e32 v97, vcc, 0, v126, vcc
	v_fmac_f64_e32 v[136:137], v[102:103], v[114:115]
	v_fmac_f64_e32 v[140:141], v[98:99], v[106:107]
	global_load_dwordx4 v[98:101], v[96:97], off offset:656
	global_load_dwordx4 v[102:105], v[96:97], off offset:640
	v_accvgpr_write_b32 a243, v117
	v_accvgpr_write_b32 a242, v116
	v_accvgpr_write_b32 a241, v115
	v_accvgpr_write_b32 a240, v114
	v_accvgpr_write_b32 a247, v109
	v_accvgpr_write_b32 a246, v108
	v_accvgpr_write_b32 a245, v107
	v_accvgpr_write_b32 a244, v106
	s_waitcnt vmcnt(1)
	v_mul_f64 v[148:149], v[88:89], v[100:101]
	s_waitcnt vmcnt(0)
	v_mul_f64 v[96:97], v[94:95], v[104:105]
	v_fma_f64 v[142:143], v[92:93], v[102:103], -v[96:97]
	v_mul_f64 v[144:145], v[92:93], v[104:105]
	v_mul_f64 v[92:93], v[90:91], v[100:101]
	v_fma_f64 v[146:147], v[88:89], v[98:99], -v[92:93]
	v_mul_u32_u24_e32 v88, 0x147b, v179
	v_lshrrev_b32_e32 v200, 17, v88
	v_mul_lo_u16_e32 v88, 50, v200
	v_sub_u16_e32 v202, v191, v88
	v_lshlrev_b16_e32 v88, 5, v202
	v_add_co_u32_e32 v88, vcc, s10, v88
	v_addc_co_u32_e32 v89, vcc, 0, v126, vcc
	v_fmac_f64_e32 v[144:145], v[94:95], v[102:103]
	v_fmac_f64_e32 v[148:149], v[90:91], v[98:99]
	global_load_dwordx4 v[90:93], v[88:89], off offset:656
	global_load_dwordx4 v[94:97], v[88:89], off offset:640
	v_accvgpr_write_b32 a251, v105
	v_accvgpr_write_b32 a250, v104
	v_accvgpr_write_b32 a249, v103
	v_accvgpr_write_b32 a248, v102
	v_accvgpr_write_b32 a255, v101
	v_accvgpr_write_b32 a254, v100
	v_accvgpr_write_b32 a253, v99
	v_accvgpr_write_b32 a252, v98
	;; [unrolled: 27-line block ×3, first 2 shown]
	s_waitcnt vmcnt(1) lgkmcnt(12)
	v_mul_f64 v[164:165], v[72:73], v[84:85]
	s_waitcnt vmcnt(0)
	v_mul_f64 v[80:81], v[78:79], v[88:89]
	v_fma_f64 v[158:159], v[76:77], v[86:87], -v[80:81]
	v_mul_f64 v[160:161], v[76:77], v[88:89]
	v_mul_f64 v[76:77], v[74:75], v[84:85]
	v_fma_f64 v[162:163], v[72:73], v[82:83], -v[76:77]
	v_mul_u32_u24_e32 v72, 0x147b, v181
	v_lshrrev_b32_e32 v206, 17, v72
	v_mul_lo_u16_e32 v72, 50, v206
	v_sub_u16_e32 v207, v242, v72
	v_lshlrev_b16_e32 v72, 5, v207
	v_add_co_u32_e32 v72, vcc, s10, v72
	v_addc_co_u32_e32 v73, vcc, 0, v126, vcc
	v_fmac_f64_e32 v[160:161], v[78:79], v[86:87]
	v_fmac_f64_e32 v[164:165], v[74:75], v[82:83]
	global_load_dwordx4 v[74:77], v[72:73], off offset:656
	global_load_dwordx4 v[78:81], v[72:73], off offset:640
	v_accvgpr_write_b32 a187, v89
	v_accvgpr_write_b32 a186, v88
	v_accvgpr_write_b32 a185, v87
	v_accvgpr_write_b32 a184, v86
	v_accvgpr_write_b32 a183, v85
	v_accvgpr_write_b32 a182, v84
	v_accvgpr_write_b32 a181, v83
	v_accvgpr_write_b32 a180, v82
	s_waitcnt vmcnt(1) lgkmcnt(9)
	v_mul_f64 v[172:173], v[64:65], v[76:77]
	s_waitcnt vmcnt(0)
	v_mul_f64 v[72:73], v[70:71], v[80:81]
	v_fma_f64 v[166:167], v[68:69], v[78:79], -v[72:73]
	v_mul_f64 v[168:169], v[68:69], v[80:81]
	v_mul_f64 v[68:69], v[66:67], v[76:77]
	v_fma_f64 v[170:171], v[64:65], v[74:75], -v[68:69]
	v_mul_u32_u24_e32 v64, 0x147b, v182
	v_lshrrev_b32_e32 v208, 17, v64
	v_mul_lo_u16_e32 v64, 50, v208
	v_sub_u16_e32 v209, v243, v64
	v_lshlrev_b16_e32 v64, 5, v209
	v_add_co_u32_e32 v64, vcc, s10, v64
	v_addc_co_u32_e32 v65, vcc, 0, v126, vcc
	v_fmac_f64_e32 v[168:169], v[70:71], v[78:79]
	v_fmac_f64_e32 v[172:173], v[66:67], v[74:75]
	global_load_dwordx4 v[66:69], v[64:65], off offset:656
	global_load_dwordx4 v[70:73], v[64:65], off offset:640
	v_accvgpr_write_b32 a179, v81
	v_accvgpr_write_b32 a178, v80
	v_accvgpr_write_b32 a177, v79
	v_accvgpr_write_b32 a176, v78
	v_accvgpr_write_b32 a175, v77
	v_accvgpr_write_b32 a174, v76
	v_accvgpr_write_b32 a173, v75
	v_accvgpr_write_b32 a172, v74
	;; [unrolled: 27-line block ×4, first 2 shown]
	s_waitcnt lgkmcnt(0)
	s_barrier
	s_waitcnt vmcnt(1)
	v_mul_f64 v[238:239], v[40:41], v[52:53]
	s_waitcnt vmcnt(0)
	v_mul_f64 v[48:49], v[46:47], v[56:57]
	v_fma_f64 v[232:233], v[44:45], v[54:55], -v[48:49]
	v_mul_f64 v[234:235], v[44:45], v[56:57]
	v_mul_f64 v[44:45], v[42:43], v[52:53]
	v_fma_f64 v[236:237], v[40:41], v[50:51], -v[44:45]
	v_add_f64 v[40:41], v[36:37], v[120:121]
	v_add_f64 v[116:117], v[40:41], v[124:125]
	v_add_f64 v[40:41], v[120:121], v[124:125]
	v_fmac_f64_e32 v[36:37], -0.5, v[40:41]
	v_add_f64 v[40:41], v[122:123], -v[112:113]
	v_fma_f64 v[108:109], s[2:3], v[40:41], v[36:37]
	v_fmac_f64_e32 v[36:37], s[4:5], v[40:41]
	v_add_f64 v[40:41], v[38:39], v[122:123]
	v_add_f64 v[118:119], v[40:41], v[112:113]
	v_add_f64 v[40:41], v[122:123], v[112:113]
	v_fmac_f64_e32 v[38:39], -0.5, v[40:41]
	v_add_f64 v[40:41], v[120:121], -v[124:125]
	v_fma_f64 v[110:111], s[4:5], v[40:41], v[38:39]
	v_fmac_f64_e32 v[38:39], s[2:3], v[40:41]
	;; [unrolled: 7-line block ×14, first 2 shown]
	v_add_f64 v[40:41], v[8:9], v[216:217]
	v_add_f64 v[60:61], v[40:41], v[220:221]
	;; [unrolled: 1-line block ×3, first 2 shown]
	v_accvgpr_write_b32 a155, v57
	v_fmac_f64_e32 v[8:9], -0.5, v[40:41]
	v_add_f64 v[40:41], v[218:219], -v[222:223]
	v_accvgpr_write_b32 a154, v56
	v_accvgpr_write_b32 a153, v55
	;; [unrolled: 1-line block ×3, first 2 shown]
	v_fma_f64 v[56:57], s[2:3], v[40:41], v[8:9]
	v_fmac_f64_e32 v[8:9], s[4:5], v[40:41]
	v_add_f64 v[40:41], v[10:11], v[218:219]
	v_add_f64 v[62:63], v[40:41], v[222:223]
	v_add_f64 v[40:41], v[218:219], v[222:223]
	v_fmac_f64_e32 v[10:11], -0.5, v[40:41]
	v_add_f64 v[40:41], v[216:217], -v[220:221]
	v_accvgpr_write_b32 a151, v53
	v_fma_f64 v[58:59], s[4:5], v[40:41], v[10:11]
	v_fmac_f64_e32 v[10:11], s[2:3], v[40:41]
	v_add_f64 v[40:41], v[4:5], v[224:225]
	v_accvgpr_write_b32 a150, v52
	v_accvgpr_write_b32 a149, v51
	;; [unrolled: 1-line block ×3, first 2 shown]
	v_add_f64 v[52:53], v[40:41], v[228:229]
	v_add_f64 v[40:41], v[224:225], v[228:229]
	v_fmac_f64_e32 v[4:5], -0.5, v[40:41]
	v_add_f64 v[40:41], v[226:227], -v[230:231]
	v_fma_f64 v[48:49], s[2:3], v[40:41], v[4:5]
	v_fmac_f64_e32 v[4:5], s[4:5], v[40:41]
	v_add_f64 v[40:41], v[6:7], v[226:227]
	v_fmac_f64_e32 v[234:235], v[46:47], v[54:55]
	v_add_f64 v[54:55], v[40:41], v[230:231]
	v_add_f64 v[40:41], v[226:227], v[230:231]
	v_fmac_f64_e32 v[6:7], -0.5, v[40:41]
	v_add_f64 v[40:41], v[224:225], -v[228:229]
	v_fmac_f64_e32 v[238:239], v[42:43], v[50:51]
	v_fma_f64 v[50:51], s[4:5], v[40:41], v[6:7]
	v_fmac_f64_e32 v[6:7], s[2:3], v[40:41]
	v_add_f64 v[40:41], v[0:1], v[232:233]
	v_add_f64 v[44:45], v[40:41], v[236:237]
	;; [unrolled: 1-line block ×3, first 2 shown]
	v_fmac_f64_e32 v[0:1], -0.5, v[40:41]
	v_add_f64 v[42:43], v[234:235], -v[238:239]
	v_fma_f64 v[40:41], s[2:3], v[42:43], v[0:1]
	v_fmac_f64_e32 v[0:1], s[4:5], v[42:43]
	v_add_f64 v[42:43], v[2:3], v[234:235]
	v_add_f64 v[46:47], v[42:43], v[238:239]
	;; [unrolled: 1-line block ×3, first 2 shown]
	v_fmac_f64_e32 v[2:3], -0.5, v[42:43]
	v_add_f64 v[120:121], v[232:233], -v[236:237]
	v_fma_f64 v[42:43], s[4:5], v[120:121], v[2:3]
	v_fmac_f64_e32 v[2:3], s[2:3], v[120:121]
	v_mul_u32_u24_e32 v120, 0x96, v214
	v_add_lshl_u32 v120, v120, v215, 4
	buffer_store_dword v120, off, s[36:39], 0 offset:196 ; 4-byte Folded Spill
	ds_write_b128 v120, v[116:119]
	ds_write_b128 v120, v[108:111] offset:800
	ds_write_b128 v120, v[36:39] offset:1600
	v_mad_legacy_u16 v36, v127, s30, v178
	v_lshlrev_b32_e32 v36, 4, v36
	ds_write_b128 v36, v[112:115]
	buffer_store_dword v36, off, s[36:39], 0 offset:200 ; 4-byte Folded Spill
	ds_write_b128 v36, v[104:107] offset:800
	ds_write_b128 v36, v[32:35] offset:1600
	v_mad_legacy_u16 v32, v198, s30, v199
	v_lshlrev_b32_e32 v32, 4, v32
	ds_write_b128 v32, v[100:103]
	buffer_store_dword v32, off, s[36:39], 0 offset:204 ; 4-byte Folded Spill
	ds_write_b128 v32, v[96:99] offset:800
	ds_write_b128 v32, v[28:31] offset:1600
	v_mad_legacy_u16 v28, v201, s30, v203
	v_lshlrev_b32_e32 v28, 4, v28
	ds_write_b128 v28, v[92:95]
	buffer_store_dword v28, off, s[36:39], 0 offset:224 ; 4-byte Folded Spill
	ds_write_b128 v28, v[88:91] offset:800
	ds_write_b128 v28, v[24:27] offset:1600
	v_mad_legacy_u16 v24, v200, s30, v202
	v_lshlrev_b32_e32 v24, 4, v24
	ds_write_b128 v24, v[84:87]
	buffer_store_dword v24, off, s[36:39], 0 offset:228 ; 4-byte Folded Spill
	ds_write_b128 v24, v[80:83] offset:800
	ds_write_b128 v24, v[20:23] offset:1600
	v_mad_legacy_u16 v20, v204, s30, v205
	v_lshlrev_b32_e32 v20, 4, v20
	ds_write_b128 v20, v[76:79]
	buffer_store_dword v20, off, s[36:39], 0 offset:232 ; 4-byte Folded Spill
	ds_write_b128 v20, v[72:75] offset:800
	ds_write_b128 v20, v[16:19] offset:1600
	v_mad_legacy_u16 v16, v206, s30, v207
	v_lshlrev_b32_e32 v16, 4, v16
	ds_write_b128 v16, v[68:71]
	buffer_store_dword v16, off, s[36:39], 0 offset:236 ; 4-byte Folded Spill
	ds_write_b128 v16, v[64:67] offset:800
	ds_write_b128 v16, v[12:15] offset:1600
	v_mad_legacy_u16 v12, v208, s30, v209
	v_lshlrev_b32_e32 v12, 4, v12
	ds_write_b128 v12, v[60:63]
	buffer_store_dword v12, off, s[36:39], 0 offset:240 ; 4-byte Folded Spill
	ds_write_b128 v12, v[56:59] offset:800
	ds_write_b128 v12, v[8:11] offset:1600
	v_mad_legacy_u16 v8, v210, s30, v211
	v_lshlrev_b32_e32 v8, 4, v8
	ds_write_b128 v8, v[52:55]
	buffer_store_dword v8, off, s[36:39], 0 offset:524 ; 4-byte Folded Spill
	ds_write_b128 v8, v[48:51] offset:800
	ds_write_b128 v8, v[4:7] offset:1600
	v_mad_legacy_u16 v4, v212, s30, v213
	v_lshlrev_b32_e32 v4, 4, v4
	v_lshlrev_b32_e32 v120, 5, v240
	ds_write_b128 v4, v[44:47]
	buffer_store_dword v4, off, s[36:39], 0 offset:528 ; 4-byte Folded Spill
	ds_write_b128 v4, v[40:43] offset:800
	ds_write_b128 v4, v[0:3] offset:1600
	s_waitcnt lgkmcnt(0)
	s_barrier
	ds_read_b128 v[36:39], v187
	ds_read_b128 v[116:119], v187 offset:21600
	ds_read_b128 v[112:115], v187 offset:43200
	;; [unrolled: 1-line block ×29, first 2 shown]
	global_load_dwordx4 v[128:131], v120, s[10:11] offset:2256
	global_load_dwordx4 v[132:135], v120, s[10:11] offset:2240
	v_add_co_u32_e32 v127, vcc, s10, v120
	v_addc_co_u32_e32 v178, vcc, 0, v126, vcc
	s_movk_i32 s11, 0x1c2
	s_waitcnt vmcnt(0) lgkmcnt(14)
	v_mul_f64 v[120:121], v[118:119], v[134:135]
	v_mul_f64 v[124:125], v[116:117], v[134:135]
	v_fma_f64 v[122:123], v[116:117], v[132:133], -v[120:121]
	v_fmac_f64_e32 v[124:125], v[118:119], v[132:133]
	v_pk_mov_b32 v[118:119], v[128:129], v[128:129] op_sel:[0,1]
	v_pk_mov_b32 v[120:121], v[130:131], v[130:131] op_sel:[0,1]
	v_mul_f64 v[116:117], v[114:115], v[120:121]
	v_fma_f64 v[174:175], v[112:113], v[118:119], -v[116:117]
	v_mul_f64 v[128:129], v[112:113], v[120:121]
	v_add_co_u32_e32 v112, vcc, -15, v240
	v_accvgpr_write_b32 a143, v121
	v_addc_co_u32_e64 v113, s[30:31], 0, -1, vcc
	v_cmp_gt_u16_e32 vcc, 15, v240
	v_accvgpr_write_b32 a142, v120
	v_accvgpr_write_b32 a141, v119
	;; [unrolled: 1-line block ×3, first 2 shown]
	v_cndmask_b32_e32 v121, v113, v196, vcc
	v_cndmask_b32_e32 v120, v112, v194, vcc
	v_lshlrev_b64 v[112:113], 5, v[120:121]
	v_add_co_u32_e32 v112, vcc, s10, v112
	v_accvgpr_write_b32 a147, v135
	v_addc_co_u32_e32 v113, vcc, v126, v113, vcc
	v_accvgpr_write_b32 a146, v134
	v_accvgpr_write_b32 a145, v133
	;; [unrolled: 1-line block ×3, first 2 shown]
	v_fmac_f64_e32 v[128:129], v[114:115], v[118:119]
	global_load_dwordx4 v[114:117], v[112:113], off offset:2256
	global_load_dwordx4 v[134:137], v[112:113], off offset:2240
	s_movk_i32 s30, 0x1b80
	s_movk_i32 s31, 0xffd3
	s_waitcnt vmcnt(1)
	v_accvgpr_write_b32 a135, v117
	s_waitcnt vmcnt(0)
	v_mul_f64 v[112:113], v[110:111], v[136:137]
	v_fma_f64 v[130:131], v[108:109], v[134:135], -v[112:113]
	v_mul_f64 v[132:133], v[108:109], v[136:137]
	v_accvgpr_write_b32 a139, v137
	v_mul_f64 v[108:109], v[106:107], v[116:117]
	v_fmac_f64_e32 v[132:133], v[110:111], v[134:135]
	v_accvgpr_write_b32 a138, v136
	v_accvgpr_write_b32 a137, v135
	;; [unrolled: 1-line block ×3, first 2 shown]
	v_fma_f64 v[134:135], v[104:105], v[114:115], -v[108:109]
	v_mul_f64 v[136:137], v[104:105], v[116:117]
	v_mul_u32_u24_e32 v104, 0xda75, v176
	v_lshrrev_b32_e32 v121, 22, v104
	v_mul_lo_u16_e32 v104, 0x96, v121
	v_sub_u16_e32 v196, v195, v104
	v_lshlrev_b16_e32 v104, 5, v196
	v_add_co_u32_e32 v104, vcc, s10, v104
	v_addc_co_u32_e32 v105, vcc, 0, v126, vcc
	v_fmac_f64_e32 v[136:137], v[106:107], v[114:115]
	global_load_dwordx4 v[106:109], v[104:105], off offset:2256
	global_load_dwordx4 v[110:113], v[104:105], off offset:2240
	v_accvgpr_write_b32 a134, v116
	v_accvgpr_write_b32 a133, v115
	v_accvgpr_write_b32 a132, v114
	s_waitcnt vmcnt(1)
	v_mul_f64 v[144:145], v[96:97], v[108:109]
	s_waitcnt vmcnt(0)
	v_mul_f64 v[104:105], v[102:103], v[112:113]
	v_fma_f64 v[138:139], v[100:101], v[110:111], -v[104:105]
	v_mul_f64 v[140:141], v[100:101], v[112:113]
	v_mul_f64 v[100:101], v[98:99], v[108:109]
	v_fma_f64 v[142:143], v[96:97], v[106:107], -v[100:101]
	v_mul_u32_u24_e32 v96, 0xda75, v177
	v_lshrrev_b32_e32 v198, 22, v96
	v_mul_lo_u16_e32 v96, 0x96, v198
	v_sub_u16_e32 v200, v190, v96
	v_lshlrev_b16_e32 v96, 5, v200
	v_add_co_u32_e32 v96, vcc, s10, v96
	v_addc_co_u32_e32 v97, vcc, 0, v126, vcc
	v_fmac_f64_e32 v[140:141], v[102:103], v[110:111]
	v_fmac_f64_e32 v[144:145], v[98:99], v[106:107]
	global_load_dwordx4 v[98:101], v[96:97], off offset:2256
	global_load_dwordx4 v[102:105], v[96:97], off offset:2240
	v_accvgpr_write_b32 a131, v113
	v_accvgpr_write_b32 a130, v112
	v_accvgpr_write_b32 a129, v111
	v_accvgpr_write_b32 a128, v110
	v_accvgpr_write_b32 a127, v109
	v_accvgpr_write_b32 a126, v108
	v_accvgpr_write_b32 a125, v107
	v_accvgpr_write_b32 a124, v106
	s_waitcnt vmcnt(1)
	v_mul_f64 v[152:153], v[88:89], v[100:101]
	s_waitcnt vmcnt(0)
	v_mul_f64 v[96:97], v[94:95], v[104:105]
	v_fma_f64 v[146:147], v[92:93], v[102:103], -v[96:97]
	v_mul_f64 v[148:149], v[92:93], v[104:105]
	v_mul_f64 v[92:93], v[90:91], v[100:101]
	v_fma_f64 v[150:151], v[88:89], v[98:99], -v[92:93]
	v_mul_u32_u24_e32 v88, 0xda75, v179
	v_lshrrev_b32_e32 v176, 22, v88
	v_mul_lo_u16_e32 v88, 0x96, v176
	v_sub_u16_e32 v199, v191, v88
	v_lshlrev_b16_e32 v88, 5, v199
	v_add_co_u32_e32 v88, vcc, s10, v88
	v_addc_co_u32_e32 v89, vcc, 0, v126, vcc
	v_fmac_f64_e32 v[148:149], v[94:95], v[102:103]
	v_fmac_f64_e32 v[152:153], v[90:91], v[98:99]
	global_load_dwordx4 v[90:93], v[88:89], off offset:2256
	global_load_dwordx4 v[94:97], v[88:89], off offset:2240
	v_accvgpr_write_b32 a123, v105
	v_accvgpr_write_b32 a122, v104
	v_accvgpr_write_b32 a121, v103
	v_accvgpr_write_b32 a120, v102
	v_accvgpr_write_b32 a119, v101
	v_accvgpr_write_b32 a118, v100
	v_accvgpr_write_b32 a117, v99
	v_accvgpr_write_b32 a116, v98
	s_waitcnt vmcnt(1)
	v_mul_f64 v[160:161], v[80:81], v[92:93]
	s_waitcnt vmcnt(0)
	v_mul_f64 v[88:89], v[86:87], v[96:97]
	v_fma_f64 v[154:155], v[84:85], v[94:95], -v[88:89]
	v_mul_f64 v[156:157], v[84:85], v[96:97]
	v_mul_f64 v[84:85], v[82:83], v[92:93]
	v_fma_f64 v[158:159], v[80:81], v[90:91], -v[84:85]
	v_mul_u32_u24_e32 v80, 0xda75, v180
	v_lshrrev_b32_e32 v180, 22, v80
	v_mul_lo_u16_e32 v80, 0x96, v180
	v_sub_u16_e32 v201, v192, v80
	v_lshlrev_b16_e32 v80, 5, v201
	v_add_co_u32_e32 v80, vcc, s10, v80
	v_addc_co_u32_e32 v81, vcc, 0, v126, vcc
	v_fmac_f64_e32 v[156:157], v[86:87], v[94:95]
	v_fmac_f64_e32 v[160:161], v[82:83], v[90:91]
	global_load_dwordx4 v[82:85], v[80:81], off offset:2256
	global_load_dwordx4 v[86:89], v[80:81], off offset:2240
	v_accvgpr_write_b32 a115, v97
	v_accvgpr_write_b32 a114, v96
	v_accvgpr_write_b32 a113, v95
	v_accvgpr_write_b32 a112, v94
	v_accvgpr_write_b32 a111, v93
	v_accvgpr_write_b32 a110, v92
	v_accvgpr_write_b32 a109, v91
	v_accvgpr_write_b32 a108, v90
	s_waitcnt vmcnt(1) lgkmcnt(12)
	v_mul_f64 v[168:169], v[72:73], v[84:85]
	s_waitcnt vmcnt(0)
	v_mul_f64 v[80:81], v[78:79], v[88:89]
	v_fma_f64 v[162:163], v[76:77], v[86:87], -v[80:81]
	v_mul_f64 v[164:165], v[76:77], v[88:89]
	v_mul_f64 v[76:77], v[74:75], v[84:85]
	v_fma_f64 v[166:167], v[72:73], v[82:83], -v[76:77]
	v_mul_u32_u24_e32 v72, 0xda75, v181
	v_lshrrev_b32_e32 v177, 22, v72
	v_mul_lo_u16_e32 v72, 0x96, v177
	v_sub_u16_e32 v181, v242, v72
	v_lshlrev_b16_e32 v72, 5, v181
	v_add_co_u32_e32 v72, vcc, s10, v72
	v_addc_co_u32_e32 v73, vcc, 0, v126, vcc
	v_fmac_f64_e32 v[164:165], v[78:79], v[86:87]
	v_fmac_f64_e32 v[168:169], v[74:75], v[82:83]
	global_load_dwordx4 v[74:77], v[72:73], off offset:2256
	global_load_dwordx4 v[78:81], v[72:73], off offset:2240
	v_accvgpr_write_b32 a107, v89
	v_accvgpr_write_b32 a106, v88
	v_accvgpr_write_b32 a105, v87
	v_accvgpr_write_b32 a104, v86
	v_accvgpr_write_b32 a103, v85
	v_accvgpr_write_b32 a102, v84
	v_accvgpr_write_b32 a101, v83
	v_accvgpr_write_b32 a100, v82
	s_waitcnt vmcnt(1) lgkmcnt(9)
	v_mul_f64 v[206:207], v[64:65], v[76:77]
	s_waitcnt vmcnt(0)
	v_mul_f64 v[72:73], v[70:71], v[80:81]
	v_fma_f64 v[170:171], v[68:69], v[78:79], -v[72:73]
	v_mul_f64 v[172:173], v[68:69], v[80:81]
	v_mul_f64 v[68:69], v[66:67], v[76:77]
	v_fma_f64 v[204:205], v[64:65], v[74:75], -v[68:69]
	v_mul_u32_u24_e32 v64, 0xda75, v182
	v_lshrrev_b32_e32 v182, 22, v64
	v_mul_lo_u16_e32 v64, 0x96, v182
	v_sub_u16_e32 v202, v243, v64
	v_lshlrev_b16_e32 v64, 5, v202
	v_add_co_u32_e32 v64, vcc, s10, v64
	v_addc_co_u32_e32 v65, vcc, 0, v126, vcc
	v_fmac_f64_e32 v[172:173], v[70:71], v[78:79]
	v_fmac_f64_e32 v[206:207], v[66:67], v[74:75]
	global_load_dwordx4 v[66:69], v[64:65], off offset:2256
	global_load_dwordx4 v[70:73], v[64:65], off offset:2240
	v_accvgpr_write_b32 a99, v81
	v_accvgpr_write_b32 a98, v80
	v_accvgpr_write_b32 a97, v79
	v_accvgpr_write_b32 a96, v78
	v_accvgpr_write_b32 a95, v77
	;; [unrolled: 27-line block ×4, first 2 shown]
	v_accvgpr_write_b32 a78, v60
	v_accvgpr_write_b32 a77, v59
	;; [unrolled: 1-line block ×3, first 2 shown]
	s_waitcnt lgkmcnt(0)
	s_barrier
	v_cmp_lt_u16_e32 vcc, 14, v240
	s_waitcnt vmcnt(1)
	v_mul_f64 v[230:231], v[40:41], v[52:53]
	s_waitcnt vmcnt(0)
	v_mul_f64 v[48:49], v[46:47], v[56:57]
	v_fma_f64 v[224:225], v[44:45], v[54:55], -v[48:49]
	v_mul_f64 v[226:227], v[44:45], v[56:57]
	v_mul_f64 v[44:45], v[42:43], v[52:53]
	v_fma_f64 v[228:229], v[40:41], v[50:51], -v[44:45]
	v_add_f64 v[40:41], v[36:37], v[122:123]
	v_add_f64 v[116:117], v[40:41], v[174:175]
	v_add_f64 v[40:41], v[122:123], v[174:175]
	v_fmac_f64_e32 v[36:37], -0.5, v[40:41]
	v_add_f64 v[40:41], v[124:125], -v[128:129]
	v_fma_f64 v[112:113], s[2:3], v[40:41], v[36:37]
	v_fmac_f64_e32 v[36:37], s[4:5], v[40:41]
	v_add_f64 v[40:41], v[38:39], v[124:125]
	v_add_f64 v[118:119], v[40:41], v[128:129]
	v_add_f64 v[40:41], v[124:125], v[128:129]
	v_fmac_f64_e32 v[38:39], -0.5, v[40:41]
	v_add_f64 v[40:41], v[122:123], -v[174:175]
	v_fma_f64 v[114:115], s[4:5], v[40:41], v[38:39]
	v_fmac_f64_e32 v[38:39], s[2:3], v[40:41]
	v_add_f64 v[40:41], v[32:33], v[130:131]
	v_add_f64 v[108:109], v[40:41], v[134:135]
	v_add_f64 v[40:41], v[130:131], v[134:135]
	v_fmac_f64_e32 v[32:33], -0.5, v[40:41]
	v_add_f64 v[40:41], v[132:133], -v[136:137]
	v_fma_f64 v[104:105], s[2:3], v[40:41], v[32:33]
	v_fmac_f64_e32 v[32:33], s[4:5], v[40:41]
	v_add_f64 v[40:41], v[34:35], v[132:133]
	v_add_f64 v[110:111], v[40:41], v[136:137]
	v_add_f64 v[40:41], v[132:133], v[136:137]
	v_fmac_f64_e32 v[34:35], -0.5, v[40:41]
	v_add_f64 v[40:41], v[130:131], -v[134:135]
	v_fma_f64 v[106:107], s[4:5], v[40:41], v[34:35]
	v_fmac_f64_e32 v[34:35], s[2:3], v[40:41]
	v_add_f64 v[40:41], v[28:29], v[138:139]
	v_add_f64 v[100:101], v[40:41], v[142:143]
	v_add_f64 v[40:41], v[138:139], v[142:143]
	v_fmac_f64_e32 v[28:29], -0.5, v[40:41]
	v_add_f64 v[40:41], v[140:141], -v[144:145]
	v_fma_f64 v[96:97], s[2:3], v[40:41], v[28:29]
	v_fmac_f64_e32 v[28:29], s[4:5], v[40:41]
	v_add_f64 v[40:41], v[30:31], v[140:141]
	v_add_f64 v[102:103], v[40:41], v[144:145]
	v_add_f64 v[40:41], v[140:141], v[144:145]
	v_fmac_f64_e32 v[30:31], -0.5, v[40:41]
	v_add_f64 v[40:41], v[138:139], -v[142:143]
	v_fma_f64 v[98:99], s[4:5], v[40:41], v[30:31]
	v_fmac_f64_e32 v[30:31], s[2:3], v[40:41]
	v_add_f64 v[40:41], v[24:25], v[146:147]
	v_add_f64 v[92:93], v[40:41], v[150:151]
	v_add_f64 v[40:41], v[146:147], v[150:151]
	v_fmac_f64_e32 v[24:25], -0.5, v[40:41]
	v_add_f64 v[40:41], v[148:149], -v[152:153]
	v_fma_f64 v[88:89], s[2:3], v[40:41], v[24:25]
	v_fmac_f64_e32 v[24:25], s[4:5], v[40:41]
	v_add_f64 v[40:41], v[26:27], v[148:149]
	v_add_f64 v[94:95], v[40:41], v[152:153]
	v_add_f64 v[40:41], v[148:149], v[152:153]
	v_fmac_f64_e32 v[26:27], -0.5, v[40:41]
	v_add_f64 v[40:41], v[146:147], -v[150:151]
	v_fma_f64 v[90:91], s[4:5], v[40:41], v[26:27]
	v_fmac_f64_e32 v[26:27], s[2:3], v[40:41]
	v_add_f64 v[40:41], v[20:21], v[154:155]
	v_add_f64 v[84:85], v[40:41], v[158:159]
	v_add_f64 v[40:41], v[154:155], v[158:159]
	v_fmac_f64_e32 v[20:21], -0.5, v[40:41]
	v_add_f64 v[40:41], v[156:157], -v[160:161]
	v_fma_f64 v[80:81], s[2:3], v[40:41], v[20:21]
	v_fmac_f64_e32 v[20:21], s[4:5], v[40:41]
	v_add_f64 v[40:41], v[22:23], v[156:157]
	v_add_f64 v[86:87], v[40:41], v[160:161]
	v_add_f64 v[40:41], v[156:157], v[160:161]
	v_fmac_f64_e32 v[22:23], -0.5, v[40:41]
	v_add_f64 v[40:41], v[154:155], -v[158:159]
	v_fma_f64 v[82:83], s[4:5], v[40:41], v[22:23]
	v_fmac_f64_e32 v[22:23], s[2:3], v[40:41]
	v_add_f64 v[40:41], v[16:17], v[162:163]
	v_add_f64 v[76:77], v[40:41], v[166:167]
	v_add_f64 v[40:41], v[162:163], v[166:167]
	v_fmac_f64_e32 v[16:17], -0.5, v[40:41]
	v_add_f64 v[40:41], v[164:165], -v[168:169]
	v_fma_f64 v[72:73], s[2:3], v[40:41], v[16:17]
	v_fmac_f64_e32 v[16:17], s[4:5], v[40:41]
	v_add_f64 v[40:41], v[18:19], v[164:165]
	v_add_f64 v[78:79], v[40:41], v[168:169]
	v_add_f64 v[40:41], v[164:165], v[168:169]
	v_fmac_f64_e32 v[18:19], -0.5, v[40:41]
	v_add_f64 v[40:41], v[162:163], -v[166:167]
	v_fma_f64 v[74:75], s[4:5], v[40:41], v[18:19]
	v_fmac_f64_e32 v[18:19], s[2:3], v[40:41]
	v_add_f64 v[40:41], v[12:13], v[170:171]
	v_add_f64 v[68:69], v[40:41], v[204:205]
	v_add_f64 v[40:41], v[170:171], v[204:205]
	v_fmac_f64_e32 v[12:13], -0.5, v[40:41]
	v_add_f64 v[40:41], v[172:173], -v[206:207]
	v_fma_f64 v[64:65], s[2:3], v[40:41], v[12:13]
	v_fmac_f64_e32 v[12:13], s[4:5], v[40:41]
	v_add_f64 v[40:41], v[14:15], v[172:173]
	v_add_f64 v[70:71], v[40:41], v[206:207]
	v_add_f64 v[40:41], v[172:173], v[206:207]
	v_fmac_f64_e32 v[14:15], -0.5, v[40:41]
	v_add_f64 v[40:41], v[170:171], -v[204:205]
	v_fma_f64 v[66:67], s[4:5], v[40:41], v[14:15]
	v_fmac_f64_e32 v[14:15], s[2:3], v[40:41]
	v_add_f64 v[40:41], v[8:9], v[208:209]
	v_add_f64 v[60:61], v[40:41], v[212:213]
	;; [unrolled: 1-line block ×3, first 2 shown]
	v_accvgpr_write_b32 a75, v57
	v_fmac_f64_e32 v[8:9], -0.5, v[40:41]
	v_add_f64 v[40:41], v[210:211], -v[214:215]
	ds_write_b128 v187, v[116:119]
	ds_write_b128 v187, v[112:115] offset:2400
	ds_write_b128 v187, v[36:39] offset:4800
	v_mov_b32_e32 v36, 0x1c2
	v_accvgpr_write_b32 a74, v56
	v_accvgpr_write_b32 a73, v55
	;; [unrolled: 1-line block ×3, first 2 shown]
	v_fma_f64 v[56:57], s[2:3], v[40:41], v[8:9]
	v_fmac_f64_e32 v[8:9], s[4:5], v[40:41]
	v_add_f64 v[40:41], v[10:11], v[210:211]
	v_cndmask_b32_e32 v36, 0, v36, vcc
	v_add_f64 v[62:63], v[40:41], v[214:215]
	v_add_f64 v[40:41], v[210:211], v[214:215]
	v_add_lshl_u32 v36, v120, v36, 4
	v_fmac_f64_e32 v[10:11], -0.5, v[40:41]
	v_add_f64 v[40:41], v[208:209], -v[212:213]
	ds_write_b128 v36, v[108:111]
	buffer_store_dword v36, off, s[36:39], 0 offset:548 ; 4-byte Folded Spill
	ds_write_b128 v36, v[104:107] offset:2400
	ds_write_b128 v36, v[32:35] offset:4800
	v_mad_legacy_u16 v32, v121, s11, v196
	v_accvgpr_write_b32 a71, v53
	v_fma_f64 v[58:59], s[4:5], v[40:41], v[10:11]
	v_fmac_f64_e32 v[10:11], s[2:3], v[40:41]
	v_add_f64 v[40:41], v[4:5], v[216:217]
	v_lshlrev_b32_e32 v32, 4, v32
	v_accvgpr_write_b32 a70, v52
	v_accvgpr_write_b32 a69, v51
	;; [unrolled: 1-line block ×3, first 2 shown]
	v_add_f64 v[52:53], v[40:41], v[220:221]
	v_add_f64 v[40:41], v[216:217], v[220:221]
	ds_write_b128 v32, v[100:103]
	buffer_store_dword v32, off, s[36:39], 0 offset:552 ; 4-byte Folded Spill
	ds_write_b128 v32, v[96:99] offset:2400
	ds_write_b128 v32, v[28:31] offset:4800
	v_mad_legacy_u16 v28, v198, s11, v200
	v_fmac_f64_e32 v[4:5], -0.5, v[40:41]
	v_add_f64 v[40:41], v[218:219], -v[222:223]
	v_lshlrev_b32_e32 v28, 4, v28
	v_fma_f64 v[48:49], s[2:3], v[40:41], v[4:5]
	v_fmac_f64_e32 v[4:5], s[4:5], v[40:41]
	v_add_f64 v[40:41], v[6:7], v[218:219]
	ds_write_b128 v28, v[92:95]
	buffer_store_dword v28, off, s[36:39], 0 offset:572 ; 4-byte Folded Spill
	ds_write_b128 v28, v[88:91] offset:2400
	ds_write_b128 v28, v[24:27] offset:4800
	v_mad_legacy_u16 v24, v176, s11, v199
	v_fmac_f64_e32 v[226:227], v[46:47], v[54:55]
	v_add_f64 v[54:55], v[40:41], v[222:223]
	v_add_f64 v[40:41], v[218:219], v[222:223]
	v_lshlrev_b32_e32 v24, 4, v24
	v_fmac_f64_e32 v[6:7], -0.5, v[40:41]
	v_add_f64 v[40:41], v[216:217], -v[220:221]
	ds_write_b128 v24, v[84:87]
	buffer_store_dword v24, off, s[36:39], 0 offset:576 ; 4-byte Folded Spill
	ds_write_b128 v24, v[80:83] offset:2400
	ds_write_b128 v24, v[20:23] offset:4800
	v_mad_legacy_u16 v20, v180, s11, v201
	v_fmac_f64_e32 v[230:231], v[42:43], v[50:51]
	v_fma_f64 v[50:51], s[4:5], v[40:41], v[6:7]
	v_fmac_f64_e32 v[6:7], s[2:3], v[40:41]
	v_add_f64 v[40:41], v[0:1], v[224:225]
	v_lshlrev_b32_e32 v20, 4, v20
	v_add_f64 v[44:45], v[40:41], v[228:229]
	v_add_f64 v[40:41], v[224:225], v[228:229]
	ds_write_b128 v20, v[76:79]
	buffer_store_dword v20, off, s[36:39], 0 offset:584 ; 4-byte Folded Spill
	ds_write_b128 v20, v[72:75] offset:2400
	ds_write_b128 v20, v[16:19] offset:4800
	v_mad_legacy_u16 v16, v177, s11, v181
	v_fmac_f64_e32 v[0:1], -0.5, v[40:41]
	v_add_f64 v[42:43], v[226:227], -v[230:231]
	v_lshlrev_b32_e32 v16, 4, v16
	v_fma_f64 v[40:41], s[2:3], v[42:43], v[0:1]
	v_fmac_f64_e32 v[0:1], s[4:5], v[42:43]
	v_add_f64 v[42:43], v[2:3], v[226:227]
	ds_write_b128 v16, v[68:71]
	buffer_store_dword v16, off, s[36:39], 0 offset:588 ; 4-byte Folded Spill
	ds_write_b128 v16, v[64:67] offset:2400
	ds_write_b128 v16, v[12:15] offset:4800
	v_mad_legacy_u16 v12, v182, s11, v202
	v_add_f64 v[46:47], v[42:43], v[230:231]
	v_add_f64 v[42:43], v[226:227], v[230:231]
	v_lshlrev_b32_e32 v12, 4, v12
	v_add_co_u32_e32 v120, vcc, s30, v127
	v_fmac_f64_e32 v[2:3], -0.5, v[42:43]
	v_add_f64 v[122:123], v[224:225], -v[228:229]
	ds_write_b128 v12, v[60:63]
	buffer_store_dword v12, off, s[36:39], 0 offset:592 ; 4-byte Folded Spill
	ds_write_b128 v12, v[56:59] offset:2400
	ds_write_b128 v12, v[8:11] offset:4800
	v_mad_legacy_u16 v8, v179, s11, v183
	v_addc_co_u32_e32 v121, vcc, 0, v178, vcc
	v_fma_f64 v[42:43], s[4:5], v[122:123], v[2:3]
	v_fmac_f64_e32 v[2:3], s[2:3], v[122:123]
	v_lshlrev_b32_e32 v8, 4, v8
	v_add_co_u32_e32 v122, vcc, s27, v127
	ds_write_b128 v8, v[52:55]
	buffer_store_dword v8, off, s[36:39], 0 offset:596 ; 4-byte Folded Spill
	ds_write_b128 v8, v[48:51] offset:2400
	ds_write_b128 v8, v[4:7] offset:4800
	v_lshlrev_b32_e32 v4, 4, v197
	v_addc_co_u32_e32 v123, vcc, 0, v178, vcc
	ds_write_b128 v4, v[44:47] offset:57600
	buffer_store_dword v4, off, s[36:39], 0 offset:600 ; 4-byte Folded Spill
	ds_write_b128 v4, v[40:43] offset:60000
	ds_write_b128 v4, v[0:3] offset:62400
	s_waitcnt lgkmcnt(0)
	s_barrier
	ds_read_b128 v[36:39], v187
	ds_read_b128 v[116:119], v187 offset:21600
	ds_read_b128 v[112:115], v187 offset:43200
	ds_read_b128 v[32:35], v187 offset:2160
	ds_read_b128 v[108:111], v187 offset:23760
	ds_read_b128 v[104:107], v187 offset:45360
	ds_read_b128 v[28:31], v187 offset:4320
	ds_read_b128 v[100:103], v187 offset:25920
	ds_read_b128 v[96:99], v187 offset:47520
	ds_read_b128 v[24:27], v187 offset:6480
	ds_read_b128 v[92:95], v187 offset:28080
	ds_read_b128 v[88:91], v187 offset:49680
	ds_read_b128 v[20:23], v187 offset:8640
	ds_read_b128 v[84:87], v187 offset:30240
	ds_read_b128 v[80:83], v187 offset:51840
	ds_read_b128 v[16:19], v187 offset:10800
	ds_read_b128 v[76:79], v187 offset:32400
	ds_read_b128 v[72:75], v187 offset:54000
	ds_read_b128 v[12:15], v187 offset:12960
	ds_read_b128 v[68:71], v187 offset:34560
	ds_read_b128 v[64:67], v187 offset:56160
	ds_read_b128 v[8:11], v187 offset:15120
	ds_read_b128 v[60:63], v187 offset:36720
	ds_read_b128 v[56:59], v187 offset:58320
	ds_read_b128 v[4:7], v187 offset:17280
	ds_read_b128 v[52:55], v187 offset:38880
	ds_read_b128 v[48:51], v187 offset:60480
	ds_read_b128 v[0:3], v187 offset:19440
	ds_read_b128 v[44:47], v187 offset:41040
	ds_read_b128 v[40:43], v187 offset:62640
	global_load_dwordx4 v[132:135], v[122:123], off offset:2944
	global_load_dwordx4 v[128:131], v[120:121], off offset:16
	v_mov_b32_e32 v220, v240
	s_waitcnt vmcnt(1) lgkmcnt(14)
	v_mul_f64 v[120:121], v[118:119], v[134:135]
	v_fma_f64 v[122:123], v[116:117], v[132:133], -v[120:121]
	v_mul_f64 v[124:125], v[116:117], v[134:135]
	s_waitcnt vmcnt(0)
	v_mul_f64 v[116:117], v[114:115], v[130:131]
	v_fma_f64 v[176:177], v[112:113], v[128:129], -v[116:117]
	v_mul_f64 v[112:113], v[112:113], v[130:131]
	v_fmac_f64_e32 v[112:113], v[114:115], v[128:129]
	v_lshlrev_b32_e32 v114, 5, v194
	v_add_co_u32_e32 v179, vcc, s10, v114
	v_addc_co_u32_e32 v180, vcc, 0, v126, vcc
	v_add_co_u32_e32 v114, vcc, s30, v179
	v_addc_co_u32_e32 v115, vcc, 0, v180, vcc
	v_add_co_u32_e32 v116, vcc, s27, v179
	v_accvgpr_write_b32 a64, v132
	v_accvgpr_write_b32 a60, v128
	v_addc_co_u32_e32 v117, vcc, 0, v180, vcc
	v_fmac_f64_e32 v[124:125], v[118:119], v[132:133]
	v_accvgpr_write_b32 a65, v133
	v_accvgpr_write_b32 a66, v134
	v_accvgpr_write_b32 a67, v135
	v_accvgpr_write_b32 a61, v129
	v_accvgpr_write_b32 a62, v130
	v_accvgpr_write_b32 a63, v131
	global_load_dwordx4 v[130:133], v[116:117], off offset:2944
	s_nop 0
	global_load_dwordx4 v[116:119], v[114:115], off offset:16
	s_waitcnt vmcnt(1)
	v_mul_f64 v[114:115], v[110:111], v[132:133]
	v_pk_mov_b32 v[134:135], v[132:133], v[132:133] op_sel:[0,1]
	v_pk_mov_b32 v[132:133], v[130:131], v[130:131] op_sel:[0,1]
	v_fma_f64 v[128:129], v[108:109], v[130:131], -v[114:115]
	v_mul_f64 v[130:131], v[108:109], v[134:135]
	v_accvgpr_write_b32 a56, v132
	s_waitcnt vmcnt(0)
	v_mul_f64 v[108:109], v[106:107], v[118:119]
	v_fmac_f64_e32 v[130:131], v[110:111], v[132:133]
	v_accvgpr_write_b32 a57, v133
	v_accvgpr_write_b32 a58, v134
	;; [unrolled: 1-line block ×3, first 2 shown]
	v_fma_f64 v[132:133], v[104:105], v[116:117], -v[108:109]
	v_mul_f64 v[134:135], v[104:105], v[118:119]
	v_lshlrev_b32_e32 v104, 5, v195
	v_add_co_u32_e32 v181, vcc, s10, v104
	v_addc_co_u32_e32 v182, vcc, 0, v126, vcc
	v_add_co_u32_e32 v104, vcc, s30, v181
	v_addc_co_u32_e32 v105, vcc, 0, v182, vcc
	v_fmac_f64_e32 v[134:135], v[106:107], v[116:117]
	v_add_co_u32_e32 v106, vcc, s27, v181
	v_accvgpr_write_b32 a52, v116
	v_addc_co_u32_e32 v107, vcc, 0, v182, vcc
	v_accvgpr_write_b32 a53, v117
	v_accvgpr_write_b32 a54, v118
	v_accvgpr_write_b32 a55, v119
	global_load_dwordx4 v[114:117], v[106:107], off offset:2944
	s_nop 0
	global_load_dwordx4 v[106:109], v[104:105], off offset:16
	s_waitcnt vmcnt(1)
	v_mul_f64 v[104:105], v[102:103], v[116:117]
	v_fma_f64 v[136:137], v[100:101], v[114:115], -v[104:105]
	v_mul_f64 v[138:139], v[100:101], v[116:117]
	s_waitcnt vmcnt(0)
	v_mul_f64 v[100:101], v[98:99], v[108:109]
	v_fma_f64 v[140:141], v[96:97], v[106:107], -v[100:101]
	v_mul_f64 v[142:143], v[96:97], v[108:109]
	v_add_co_u32_e32 v96, vcc, s31, v240
	v_addc_co_u32_e64 v97, s[34:35], 0, -1, vcc
	v_cmp_gt_u16_e32 vcc, 45, v240
	v_cndmask_b32_e32 v121, v97, v193, vcc
	v_cndmask_b32_e32 v120, v96, v190, vcc
	v_lshlrev_b64 v[96:97], 5, v[120:121]
	v_fmac_f64_e32 v[142:143], v[98:99], v[106:107]
	v_add_co_u32_e32 v98, vcc, s10, v96
	v_addc_co_u32_e32 v99, vcc, v126, v97, vcc
	v_add_co_u32_e32 v96, vcc, s30, v98
	v_addc_co_u32_e32 v97, vcc, 0, v99, vcc
	v_add_co_u32_e32 v98, vcc, s27, v98
	buffer_store_dword v220, off, s[36:39], 0 ; 4-byte Folded Spill
	v_addc_co_u32_e32 v99, vcc, 0, v99, vcc
	v_fmac_f64_e32 v[138:139], v[102:103], v[114:115]
	global_load_dwordx4 v[102:105], v[98:99], off offset:2944
	s_nop 0
	global_load_dwordx4 v[98:101], v[96:97], off offset:16
	s_movk_i32 s31, 0x26c0
	v_accvgpr_write_b32 a48, v114
	v_accvgpr_write_b32 a49, v115
	;; [unrolled: 1-line block ×8, first 2 shown]
	s_waitcnt vmcnt(1)
	v_mul_f64 v[96:97], v[94:95], v[104:105]
	v_fma_f64 v[144:145], v[92:93], v[102:103], -v[96:97]
	v_mul_f64 v[146:147], v[92:93], v[104:105]
	s_waitcnt vmcnt(0)
	v_mul_f64 v[92:93], v[90:91], v[100:101]
	v_fma_f64 v[148:149], v[88:89], v[98:99], -v[92:93]
	v_mul_f64 v[150:151], v[88:89], v[100:101]
	v_add_co_u32_e32 v88, vcc, s31, v127
	v_addc_co_u32_e32 v89, vcc, 0, v178, vcc
	v_fmac_f64_e32 v[150:151], v[90:91], v[98:99]
	v_add_co_u32_e32 v90, vcc, s29, v127
	v_addc_co_u32_e32 v91, vcc, 0, v178, vcc
	v_fmac_f64_e32 v[146:147], v[94:95], v[102:103]
	global_load_dwordx4 v[94:97], v[90:91], off offset:1728
	s_nop 0
	global_load_dwordx4 v[90:93], v[88:89], off offset:16
	s_movk_i32 s29, 0x37a0
	v_accvgpr_write_b32 a40, v102
	v_accvgpr_write_b32 a41, v103
	;; [unrolled: 1-line block ×8, first 2 shown]
	s_waitcnt vmcnt(1)
	v_mul_f64 v[88:89], v[86:87], v[96:97]
	v_fma_f64 v[152:153], v[84:85], v[94:95], -v[88:89]
	v_mul_f64 v[154:155], v[84:85], v[96:97]
	s_waitcnt vmcnt(0)
	v_mul_f64 v[84:85], v[82:83], v[92:93]
	v_fma_f64 v[156:157], v[80:81], v[90:91], -v[84:85]
	v_mul_f64 v[158:159], v[80:81], v[92:93]
	v_add_co_u32_e32 v80, vcc, s29, v127
	v_addc_co_u32_e32 v81, vcc, 0, v178, vcc
	v_fmac_f64_e32 v[158:159], v[82:83], v[90:91]
	v_add_co_u32_e32 v82, vcc, s28, v127
	v_addc_co_u32_e32 v83, vcc, 0, v178, vcc
	v_fmac_f64_e32 v[154:155], v[86:87], v[94:95]
	global_load_dwordx4 v[86:89], v[82:83], off offset:1952
	s_nop 0
	global_load_dwordx4 v[82:85], v[80:81], off offset:16
	s_mov_b32 s28, 0x91a3
	v_accvgpr_write_b32 a32, v94
	v_accvgpr_write_b32 a33, v95
	;; [unrolled: 1-line block ×8, first 2 shown]
	s_waitcnt vmcnt(1) lgkmcnt(13)
	v_mul_f64 v[80:81], v[78:79], v[88:89]
	v_fma_f64 v[160:161], v[76:77], v[86:87], -v[80:81]
	v_mul_f64 v[162:163], v[76:77], v[88:89]
	s_waitcnt vmcnt(0) lgkmcnt(12)
	v_mul_f64 v[76:77], v[74:75], v[84:85]
	v_fma_f64 v[164:165], v[72:73], v[82:83], -v[76:77]
	v_mul_f64 v[166:167], v[72:73], v[84:85]
	v_mul_u32_u24_sdwa v72, v242, s28 dst_sel:DWORD dst_unused:UNUSED_PAD src0_sel:WORD_0 src1_sel:DWORD
	v_lshrrev_b32_e32 v121, 24, v72
	v_mul_lo_u16_e32 v72, 0x1c2, v121
	v_sub_u16_e32 v183, v242, v72
	v_lshlrev_b16_e32 v72, 5, v183
	v_fmac_f64_e32 v[166:167], v[74:75], v[82:83]
	v_add_co_u32_e32 v74, vcc, s10, v72
	v_addc_co_u32_e32 v75, vcc, 0, v126, vcc
	v_add_co_u32_e32 v72, vcc, s30, v74
	v_addc_co_u32_e32 v73, vcc, 0, v75, vcc
	;; [unrolled: 2-line block ×3, first 2 shown]
	v_fmac_f64_e32 v[162:163], v[78:79], v[86:87]
	global_load_dwordx4 v[78:81], v[74:75], off offset:2944
	s_nop 0
	global_load_dwordx4 v[74:77], v[72:73], off offset:16
	v_accvgpr_write_b32 a24, v86
	v_accvgpr_write_b32 a25, v87
	;; [unrolled: 1-line block ×8, first 2 shown]
	s_waitcnt vmcnt(1) lgkmcnt(10)
	v_mul_f64 v[72:73], v[70:71], v[80:81]
	v_fma_f64 v[168:169], v[68:69], v[78:79], -v[72:73]
	v_mul_f64 v[170:171], v[68:69], v[80:81]
	s_waitcnt vmcnt(0) lgkmcnt(9)
	v_mul_f64 v[68:69], v[66:67], v[76:77]
	v_fma_f64 v[172:173], v[64:65], v[74:75], -v[68:69]
	v_mul_f64 v[174:175], v[64:65], v[76:77]
	v_mul_u32_u24_sdwa v64, v185, s28 dst_sel:DWORD dst_unused:UNUSED_PAD src0_sel:WORD_0 src1_sel:DWORD
	v_mul_lo_u16_sdwa v64, v64, s11 dst_sel:DWORD dst_unused:UNUSED_PAD src0_sel:BYTE_3 src1_sel:DWORD
	v_sub_u16_e32 v193, v185, v64
	v_lshlrev_b16_e32 v64, 5, v193
	v_fmac_f64_e32 v[174:175], v[66:67], v[74:75]
	v_add_co_u32_e32 v66, vcc, s10, v64
	v_addc_co_u32_e32 v67, vcc, 0, v126, vcc
	v_add_co_u32_e32 v64, vcc, s30, v66
	v_addc_co_u32_e32 v65, vcc, 0, v67, vcc
	;; [unrolled: 2-line block ×3, first 2 shown]
	v_fmac_f64_e32 v[170:171], v[70:71], v[78:79]
	global_load_dwordx4 v[70:73], v[66:67], off offset:2944
	s_nop 0
	global_load_dwordx4 v[66:69], v[64:65], off offset:16
	v_accvgpr_write_b32 a16, v78
	v_accvgpr_write_b32 a17, v79
	;; [unrolled: 1-line block ×8, first 2 shown]
	s_waitcnt vmcnt(1) lgkmcnt(7)
	v_mul_f64 v[64:65], v[62:63], v[72:73]
	v_fma_f64 v[196:197], v[60:61], v[70:71], -v[64:65]
	v_mul_f64 v[198:199], v[60:61], v[72:73]
	s_waitcnt vmcnt(0) lgkmcnt(6)
	v_mul_f64 v[60:61], v[58:59], v[68:69]
	v_fma_f64 v[200:201], v[56:57], v[66:67], -v[60:61]
	v_mul_f64 v[202:203], v[56:57], v[68:69]
	v_mul_u32_u24_sdwa v56, v251, s28 dst_sel:DWORD dst_unused:UNUSED_PAD src0_sel:WORD_0 src1_sel:DWORD
	v_mul_lo_u16_sdwa v56, v56, s11 dst_sel:DWORD dst_unused:UNUSED_PAD src0_sel:BYTE_3 src1_sel:DWORD
	v_sub_u16_e32 v194, v251, v56
	v_lshlrev_b16_e32 v56, 5, v194
	v_fmac_f64_e32 v[202:203], v[58:59], v[66:67]
	v_add_co_u32_e32 v58, vcc, s10, v56
	v_addc_co_u32_e32 v59, vcc, 0, v126, vcc
	v_add_co_u32_e32 v56, vcc, s30, v58
	v_addc_co_u32_e32 v57, vcc, 0, v59, vcc
	;; [unrolled: 2-line block ×3, first 2 shown]
	global_load_dwordx4 v[244:247], v[58:59], off offset:2944
	s_nop 0
	global_load_dwordx4 v[58:61], v[56:57], off offset:16
	v_accvgpr_write_b32 a8, v70
	v_accvgpr_write_b32 a9, v71
	;; [unrolled: 1-line block ×8, first 2 shown]
	v_fmac_f64_e32 v[198:199], v[62:63], v[70:71]
	s_waitcnt vmcnt(1) lgkmcnt(4)
	v_mul_f64 v[56:57], v[54:55], v[246:247]
	v_fma_f64 v[204:205], v[52:53], v[244:245], -v[56:57]
	v_mul_f64 v[206:207], v[52:53], v[246:247]
	s_waitcnt vmcnt(0) lgkmcnt(3)
	v_mul_f64 v[52:53], v[50:51], v[60:61]
	v_fma_f64 v[208:209], v[48:49], v[58:59], -v[52:53]
	v_mul_f64 v[210:211], v[48:49], v[60:61]
	v_mul_u32_u24_sdwa v48, v184, s28 dst_sel:DWORD dst_unused:UNUSED_PAD src0_sel:WORD_0 src1_sel:DWORD
	v_mul_lo_u16_sdwa v48, v48, s11 dst_sel:DWORD dst_unused:UNUSED_PAD src0_sel:BYTE_3 src1_sel:DWORD
	v_sub_u16_e32 v195, v184, v48
	v_lshlrev_b16_e32 v48, 5, v195
	v_fmac_f64_e32 v[210:211], v[50:51], v[58:59]
	v_add_co_u32_e32 v50, vcc, s10, v48
	v_addc_co_u32_e32 v51, vcc, 0, v126, vcc
	v_add_co_u32_e32 v48, vcc, s30, v50
	v_addc_co_u32_e32 v49, vcc, 0, v51, vcc
	;; [unrolled: 2-line block ×3, first 2 shown]
	global_load_dwordx4 v[234:237], v[50:51], off offset:2944
	global_load_dwordx4 v[238:241], v[48:49], off offset:16
	v_accvgpr_write_b32 a0, v58
	v_accvgpr_write_b32 a1, v59
	;; [unrolled: 1-line block ×4, first 2 shown]
	v_fmac_f64_e32 v[206:207], v[54:55], v[244:245]
	s_waitcnt lgkmcnt(0)
	s_barrier
	v_cmp_lt_u16_e32 vcc, 44, v220
	s_movk_i32 s11, 0x546
	s_waitcnt vmcnt(1)
	v_mul_f64 v[48:49], v[46:47], v[236:237]
	v_fma_f64 v[212:213], v[44:45], v[234:235], -v[48:49]
	v_mul_f64 v[214:215], v[44:45], v[236:237]
	s_waitcnt vmcnt(0)
	v_mul_f64 v[44:45], v[42:43], v[240:241]
	v_fma_f64 v[216:217], v[40:41], v[238:239], -v[44:45]
	v_mul_f64 v[218:219], v[40:41], v[240:241]
	v_add_f64 v[40:41], v[36:37], v[122:123]
	v_add_f64 v[116:117], v[40:41], v[176:177]
	v_add_f64 v[40:41], v[122:123], v[176:177]
	v_fmac_f64_e32 v[36:37], -0.5, v[40:41]
	v_add_f64 v[40:41], v[124:125], -v[112:113]
	v_fma_f64 v[108:109], s[2:3], v[40:41], v[36:37]
	v_fmac_f64_e32 v[36:37], s[4:5], v[40:41]
	v_add_f64 v[40:41], v[38:39], v[124:125]
	v_add_f64 v[118:119], v[40:41], v[112:113]
	v_add_f64 v[40:41], v[124:125], v[112:113]
	v_fmac_f64_e32 v[38:39], -0.5, v[40:41]
	v_add_f64 v[40:41], v[122:123], -v[176:177]
	v_fma_f64 v[110:111], s[4:5], v[40:41], v[38:39]
	v_fmac_f64_e32 v[38:39], s[2:3], v[40:41]
	v_add_f64 v[40:41], v[32:33], v[128:129]
	v_add_f64 v[112:113], v[40:41], v[132:133]
	v_add_f64 v[40:41], v[128:129], v[132:133]
	v_fmac_f64_e32 v[32:33], -0.5, v[40:41]
	v_add_f64 v[40:41], v[130:131], -v[134:135]
	v_fma_f64 v[104:105], s[2:3], v[40:41], v[32:33]
	v_fmac_f64_e32 v[32:33], s[4:5], v[40:41]
	v_add_f64 v[40:41], v[34:35], v[130:131]
	v_add_f64 v[114:115], v[40:41], v[134:135]
	v_add_f64 v[40:41], v[130:131], v[134:135]
	v_fmac_f64_e32 v[34:35], -0.5, v[40:41]
	v_add_f64 v[40:41], v[128:129], -v[132:133]
	v_fma_f64 v[106:107], s[4:5], v[40:41], v[34:35]
	v_fmac_f64_e32 v[34:35], s[2:3], v[40:41]
	v_add_f64 v[40:41], v[28:29], v[136:137]
	v_add_f64 v[100:101], v[40:41], v[140:141]
	v_add_f64 v[40:41], v[136:137], v[140:141]
	v_fmac_f64_e32 v[28:29], -0.5, v[40:41]
	v_add_f64 v[40:41], v[138:139], -v[142:143]
	v_fma_f64 v[96:97], s[2:3], v[40:41], v[28:29]
	v_fmac_f64_e32 v[28:29], s[4:5], v[40:41]
	v_add_f64 v[40:41], v[30:31], v[138:139]
	v_add_f64 v[102:103], v[40:41], v[142:143]
	v_add_f64 v[40:41], v[138:139], v[142:143]
	v_fmac_f64_e32 v[30:31], -0.5, v[40:41]
	v_add_f64 v[40:41], v[136:137], -v[140:141]
	v_fma_f64 v[98:99], s[4:5], v[40:41], v[30:31]
	v_fmac_f64_e32 v[30:31], s[2:3], v[40:41]
	v_add_f64 v[40:41], v[24:25], v[144:145]
	v_add_f64 v[92:93], v[40:41], v[148:149]
	v_add_f64 v[40:41], v[144:145], v[148:149]
	v_fmac_f64_e32 v[24:25], -0.5, v[40:41]
	v_add_f64 v[40:41], v[146:147], -v[150:151]
	v_fma_f64 v[88:89], s[2:3], v[40:41], v[24:25]
	v_fmac_f64_e32 v[24:25], s[4:5], v[40:41]
	v_add_f64 v[40:41], v[26:27], v[146:147]
	v_add_f64 v[94:95], v[40:41], v[150:151]
	v_add_f64 v[40:41], v[146:147], v[150:151]
	v_fmac_f64_e32 v[26:27], -0.5, v[40:41]
	v_add_f64 v[40:41], v[144:145], -v[148:149]
	v_fma_f64 v[90:91], s[4:5], v[40:41], v[26:27]
	v_fmac_f64_e32 v[26:27], s[2:3], v[40:41]
	v_add_f64 v[40:41], v[20:21], v[152:153]
	v_add_f64 v[84:85], v[40:41], v[156:157]
	v_add_f64 v[40:41], v[152:153], v[156:157]
	v_fmac_f64_e32 v[20:21], -0.5, v[40:41]
	v_add_f64 v[40:41], v[154:155], -v[158:159]
	v_fma_f64 v[80:81], s[2:3], v[40:41], v[20:21]
	v_fmac_f64_e32 v[20:21], s[4:5], v[40:41]
	v_add_f64 v[40:41], v[22:23], v[154:155]
	v_add_f64 v[86:87], v[40:41], v[158:159]
	v_add_f64 v[40:41], v[154:155], v[158:159]
	v_fmac_f64_e32 v[22:23], -0.5, v[40:41]
	v_add_f64 v[40:41], v[152:153], -v[156:157]
	v_fma_f64 v[82:83], s[4:5], v[40:41], v[22:23]
	v_fmac_f64_e32 v[22:23], s[2:3], v[40:41]
	v_add_f64 v[40:41], v[16:17], v[160:161]
	v_add_f64 v[76:77], v[40:41], v[164:165]
	v_add_f64 v[40:41], v[160:161], v[164:165]
	v_fmac_f64_e32 v[16:17], -0.5, v[40:41]
	v_add_f64 v[40:41], v[162:163], -v[166:167]
	v_fma_f64 v[72:73], s[2:3], v[40:41], v[16:17]
	v_fmac_f64_e32 v[16:17], s[4:5], v[40:41]
	v_add_f64 v[40:41], v[18:19], v[162:163]
	v_add_f64 v[78:79], v[40:41], v[166:167]
	v_add_f64 v[40:41], v[162:163], v[166:167]
	v_fmac_f64_e32 v[18:19], -0.5, v[40:41]
	v_add_f64 v[40:41], v[160:161], -v[164:165]
	v_fma_f64 v[74:75], s[4:5], v[40:41], v[18:19]
	v_fmac_f64_e32 v[18:19], s[2:3], v[40:41]
	v_add_f64 v[40:41], v[12:13], v[168:169]
	v_add_f64 v[68:69], v[40:41], v[172:173]
	v_add_f64 v[40:41], v[168:169], v[172:173]
	v_fmac_f64_e32 v[12:13], -0.5, v[40:41]
	v_add_f64 v[40:41], v[170:171], -v[174:175]
	v_fma_f64 v[64:65], s[2:3], v[40:41], v[12:13]
	v_fmac_f64_e32 v[12:13], s[4:5], v[40:41]
	v_add_f64 v[40:41], v[14:15], v[170:171]
	v_add_f64 v[70:71], v[40:41], v[174:175]
	v_add_f64 v[40:41], v[170:171], v[174:175]
	v_fmac_f64_e32 v[14:15], -0.5, v[40:41]
	v_add_f64 v[40:41], v[168:169], -v[172:173]
	v_fma_f64 v[66:67], s[4:5], v[40:41], v[14:15]
	v_fmac_f64_e32 v[14:15], s[2:3], v[40:41]
	v_add_f64 v[40:41], v[8:9], v[196:197]
	v_add_f64 v[60:61], v[40:41], v[200:201]
	v_add_f64 v[40:41], v[196:197], v[200:201]
	v_fmac_f64_e32 v[8:9], -0.5, v[40:41]
	v_add_f64 v[40:41], v[198:199], -v[202:203]
	v_fma_f64 v[56:57], s[2:3], v[40:41], v[8:9]
	v_fmac_f64_e32 v[8:9], s[4:5], v[40:41]
	v_add_f64 v[40:41], v[10:11], v[198:199]
	v_add_f64 v[62:63], v[40:41], v[202:203]
	v_add_f64 v[40:41], v[198:199], v[202:203]
	v_fmac_f64_e32 v[10:11], -0.5, v[40:41]
	v_add_f64 v[40:41], v[196:197], -v[200:201]
	v_fma_f64 v[58:59], s[4:5], v[40:41], v[10:11]
	v_fmac_f64_e32 v[10:11], s[2:3], v[40:41]
	v_add_f64 v[40:41], v[4:5], v[204:205]
	v_add_f64 v[52:53], v[40:41], v[208:209]
	v_add_f64 v[40:41], v[204:205], v[208:209]
	v_fmac_f64_e32 v[4:5], -0.5, v[40:41]
	v_add_f64 v[40:41], v[206:207], -v[210:211]
	v_fma_f64 v[48:49], s[2:3], v[40:41], v[4:5]
	v_fmac_f64_e32 v[4:5], s[4:5], v[40:41]
	v_add_f64 v[40:41], v[6:7], v[206:207]
	v_add_f64 v[54:55], v[40:41], v[210:211]
	v_add_f64 v[40:41], v[206:207], v[210:211]
	v_fmac_f64_e32 v[6:7], -0.5, v[40:41]
	v_add_f64 v[40:41], v[204:205], -v[208:209]
	v_fma_f64 v[50:51], s[4:5], v[40:41], v[6:7]
	v_fmac_f64_e32 v[6:7], s[2:3], v[40:41]
	v_add_f64 v[40:41], v[0:1], v[212:213]
	ds_write_b128 v187, v[116:119]
	ds_write_b128 v187, v[108:111] offset:7200
	ds_write_b128 v187, v[36:39] offset:14400
	ds_write_b128 v187, v[112:115] offset:2160
	ds_write_b128 v187, v[104:107] offset:9360
	ds_write_b128 v187, v[32:35] offset:16560
	ds_write_b128 v187, v[100:103] offset:4320
	ds_write_b128 v187, v[96:99] offset:11520
	ds_write_b128 v187, v[28:31] offset:18720
	v_mov_b32_e32 v28, 0x546
	v_fmac_f64_e32 v[214:215], v[46:47], v[234:235]
	v_fmac_f64_e32 v[218:219], v[42:43], v[238:239]
	v_add_f64 v[44:45], v[40:41], v[216:217]
	v_add_f64 v[40:41], v[212:213], v[216:217]
	v_cndmask_b32_e32 v28, 0, v28, vcc
	v_fmac_f64_e32 v[0:1], -0.5, v[40:41]
	v_add_f64 v[42:43], v[214:215], -v[218:219]
	v_add_lshl_u32 v28, v120, v28, 4
	v_fma_f64 v[40:41], s[2:3], v[42:43], v[0:1]
	v_fmac_f64_e32 v[0:1], s[4:5], v[42:43]
	v_add_f64 v[42:43], v[2:3], v[214:215]
	ds_write_b128 v28, v[92:95]
	buffer_store_dword v28, off, s[36:39], 0 offset:876 ; 4-byte Folded Spill
	ds_write_b128 v28, v[88:91] offset:7200
	ds_write_b128 v28, v[24:27] offset:14400
	;; [unrolled: 1-line block ×8, first 2 shown]
	v_mad_legacy_u16 v16, v121, s11, v183
	s_movk_i32 s11, 0x53c0
	v_add_f64 v[46:47], v[42:43], v[218:219]
	v_add_f64 v[42:43], v[214:215], v[218:219]
	v_lshlrev_b32_e32 v16, 4, v16
	v_add_co_u32_e32 v120, vcc, s11, v127
	v_fmac_f64_e32 v[2:3], -0.5, v[42:43]
	v_add_f64 v[122:123], v[212:213], -v[216:217]
	ds_write_b128 v16, v[68:71]
	buffer_store_dword v16, off, s[36:39], 0 offset:880 ; 4-byte Folded Spill
	ds_write_b128 v16, v[64:67] offset:7200
	ds_write_b128 v16, v[12:15] offset:14400
	v_lshlrev_b32_e32 v12, 4, v193
	v_addc_co_u32_e32 v121, vcc, 0, v178, vcc
	v_fma_f64 v[42:43], s[4:5], v[122:123], v[2:3]
	v_fmac_f64_e32 v[2:3], s[2:3], v[122:123]
	ds_write_b128 v12, v[60:63] offset:43200
	buffer_store_dword v12, off, s[36:39], 0 offset:864 ; 4-byte Folded Spill
	ds_write_b128 v12, v[56:59] offset:50400
	ds_write_b128 v12, v[8:11] offset:57600
	v_lshlrev_b32_e32 v8, 4, v194
	v_add_co_u32_e32 v122, vcc, s26, v127
	ds_write_b128 v8, v[52:55] offset:43200
	buffer_store_dword v8, off, s[36:39], 0 offset:868 ; 4-byte Folded Spill
	ds_write_b128 v8, v[48:51] offset:50400
	ds_write_b128 v8, v[4:7] offset:57600
	v_lshlrev_b32_e32 v4, 4, v195
	v_addc_co_u32_e32 v123, vcc, 0, v178, vcc
	ds_write_b128 v4, v[44:47] offset:43200
	buffer_store_dword v4, off, s[36:39], 0 offset:872 ; 4-byte Folded Spill
	ds_write_b128 v4, v[40:43] offset:50400
	ds_write_b128 v4, v[0:3] offset:57600
	s_waitcnt lgkmcnt(0)
	s_barrier
	ds_read_b128 v[36:39], v187
	ds_read_b128 v[116:119], v187 offset:21600
	ds_read_b128 v[112:115], v187 offset:43200
	;; [unrolled: 1-line block ×29, first 2 shown]
	global_load_dwordx4 v[226:229], v[122:123], off offset:960
	global_load_dwordx4 v[230:233], v[120:121], off offset:16
	s_waitcnt vmcnt(1) lgkmcnt(14)
	v_mul_f64 v[120:121], v[118:119], v[228:229]
	v_fma_f64 v[120:121], v[116:117], v[226:227], -v[120:121]
	v_mul_f64 v[122:123], v[116:117], v[228:229]
	s_waitcnt vmcnt(0)
	v_mul_f64 v[116:117], v[114:115], v[232:233]
	v_fma_f64 v[124:125], v[112:113], v[230:231], -v[116:117]
	v_mul_f64 v[112:113], v[112:113], v[232:233]
	v_fmac_f64_e32 v[112:113], v[114:115], v[230:231]
	v_add_co_u32_e32 v114, vcc, s11, v179
	v_addc_co_u32_e32 v115, vcc, 0, v180, vcc
	v_add_co_u32_e32 v116, vcc, s26, v179
	v_addc_co_u32_e32 v117, vcc, 0, v180, vcc
	global_load_dwordx4 v[218:221], v[116:117], off offset:960
	global_load_dwordx4 v[222:225], v[114:115], off offset:16
	v_fmac_f64_e32 v[122:123], v[118:119], v[226:227]
	s_waitcnt vmcnt(1)
	v_mul_f64 v[114:115], v[110:111], v[220:221]
	v_fma_f64 v[142:143], v[108:109], v[218:219], -v[114:115]
	v_mul_f64 v[128:129], v[108:109], v[220:221]
	s_waitcnt vmcnt(0)
	v_mul_f64 v[108:109], v[106:107], v[224:225]
	v_fma_f64 v[130:131], v[104:105], v[222:223], -v[108:109]
	v_mul_f64 v[132:133], v[104:105], v[224:225]
	v_add_co_u32_e32 v104, vcc, s11, v181
	v_addc_co_u32_e32 v105, vcc, 0, v182, vcc
	v_fmac_f64_e32 v[132:133], v[106:107], v[222:223]
	v_add_co_u32_e32 v106, vcc, s26, v181
	v_addc_co_u32_e32 v107, vcc, 0, v182, vcc
	global_load_dwordx4 v[210:213], v[106:107], off offset:960
	global_load_dwordx4 v[214:217], v[104:105], off offset:16
	v_fmac_f64_e32 v[128:129], v[110:111], v[218:219]
	s_waitcnt vmcnt(1)
	v_mul_f64 v[104:105], v[102:103], v[212:213]
	v_fma_f64 v[254:255], v[100:101], v[210:211], -v[104:105]
	v_mul_f64 v[100:101], v[100:101], v[212:213]
	v_fmac_f64_e32 v[100:101], v[102:103], v[210:211]
	s_waitcnt vmcnt(0)
	v_mul_f64 v[102:103], v[98:99], v[216:217]
	v_fma_f64 v[102:103], v[96:97], v[214:215], -v[102:103]
	v_mul_f64 v[96:97], v[96:97], v[216:217]
	v_fmac_f64_e32 v[96:97], v[98:99], v[214:215]
	v_lshlrev_b32_e32 v98, 5, v190
	v_add_co_u32_e32 v104, vcc, s10, v98
	v_addc_co_u32_e32 v105, vcc, 0, v126, vcc
	v_add_co_u32_e32 v98, vcc, s11, v104
	v_addc_co_u32_e32 v99, vcc, 0, v105, vcc
	v_add_co_u32_e32 v104, vcc, s26, v104
	v_addc_co_u32_e32 v105, vcc, 0, v105, vcc
	global_load_dwordx4 v[202:205], v[104:105], off offset:960
	global_load_dwordx4 v[206:209], v[98:99], off offset:16
	s_waitcnt vmcnt(1)
	v_mul_f64 v[98:99], v[94:95], v[204:205]
	v_fma_f64 v[98:99], v[92:93], v[202:203], -v[98:99]
	v_mul_f64 v[92:93], v[92:93], v[204:205]
	v_fmac_f64_e32 v[92:93], v[94:95], v[202:203]
	s_waitcnt vmcnt(0)
	v_mul_f64 v[94:95], v[90:91], v[208:209]
	v_fma_f64 v[94:95], v[88:89], v[206:207], -v[94:95]
	v_mul_f64 v[88:89], v[88:89], v[208:209]
	v_fmac_f64_e32 v[88:89], v[90:91], v[206:207]
	v_lshlrev_b32_e32 v90, 5, v191
	v_add_co_u32_e32 v104, vcc, s10, v90
	v_addc_co_u32_e32 v105, vcc, 0, v126, vcc
	v_add_co_u32_e32 v90, vcc, s11, v104
	v_addc_co_u32_e32 v91, vcc, 0, v105, vcc
	v_add_co_u32_e32 v104, vcc, s26, v104
	v_addc_co_u32_e32 v105, vcc, 0, v105, vcc
	global_load_dwordx4 v[194:197], v[104:105], off offset:960
	global_load_dwordx4 v[198:201], v[90:91], off offset:16
	;; [unrolled: 19-line block ×3, first 2 shown]
	s_waitcnt vmcnt(1) lgkmcnt(13)
	v_mul_f64 v[82:83], v[78:79], v[182:183]
	v_fma_f64 v[82:83], v[76:77], v[180:181], -v[82:83]
	v_mul_f64 v[76:77], v[76:77], v[182:183]
	v_fmac_f64_e32 v[76:77], v[78:79], v[180:181]
	s_waitcnt vmcnt(0) lgkmcnt(12)
	v_mul_f64 v[78:79], v[74:75], v[192:193]
	v_fma_f64 v[78:79], v[72:73], v[190:191], -v[78:79]
	v_mul_f64 v[72:73], v[72:73], v[192:193]
	v_fmac_f64_e32 v[72:73], v[74:75], v[190:191]
	v_lshlrev_b32_e32 v74, 5, v242
	v_add_co_u32_e32 v104, vcc, s10, v74
	v_addc_co_u32_e32 v105, vcc, 0, v126, vcc
	v_add_co_u32_e32 v74, vcc, s11, v104
	v_addc_co_u32_e32 v75, vcc, 0, v105, vcc
	;; [unrolled: 2-line block ×3, first 2 shown]
	global_load_dwordx4 v[172:175], v[104:105], off offset:960
	global_load_dwordx4 v[176:179], v[74:75], off offset:16
	s_waitcnt vmcnt(1) lgkmcnt(10)
	v_mul_f64 v[74:75], v[70:71], v[174:175]
	v_fma_f64 v[134:135], v[68:69], v[172:173], -v[74:75]
	v_mul_f64 v[136:137], v[68:69], v[174:175]
	s_waitcnt vmcnt(0) lgkmcnt(9)
	v_mul_f64 v[68:69], v[66:67], v[178:179]
	v_fma_f64 v[138:139], v[64:65], v[176:177], -v[68:69]
	v_mul_f64 v[140:141], v[64:65], v[178:179]
	v_lshlrev_b32_e32 v64, 5, v185
	v_fmac_f64_e32 v[140:141], v[66:67], v[176:177]
	v_add_co_u32_e32 v66, vcc, s10, v64
	v_addc_co_u32_e32 v67, vcc, 0, v126, vcc
	v_add_co_u32_e32 v64, vcc, s11, v66
	v_addc_co_u32_e32 v65, vcc, 0, v67, vcc
	;; [unrolled: 2-line block ×3, first 2 shown]
	global_load_dwordx4 v[164:167], v[66:67], off offset:960
	global_load_dwordx4 v[168:171], v[64:65], off offset:16
	v_fmac_f64_e32 v[136:137], v[70:71], v[172:173]
	s_waitcnt vmcnt(1) lgkmcnt(7)
	v_mul_f64 v[64:65], v[62:63], v[166:167]
	v_fma_f64 v[144:145], v[60:61], v[164:165], -v[64:65]
	v_mul_f64 v[146:147], v[60:61], v[166:167]
	s_waitcnt vmcnt(0) lgkmcnt(6)
	v_mul_f64 v[60:61], v[58:59], v[170:171]
	v_fmac_f64_e32 v[146:147], v[62:63], v[164:165]
	v_fma_f64 v[60:61], v[56:57], v[168:169], -v[60:61]
	v_mul_f64 v[62:63], v[56:57], v[170:171]
	v_lshlrev_b32_e32 v56, 5, v251
	v_fmac_f64_e32 v[62:63], v[58:59], v[168:169]
	v_add_co_u32_e32 v58, vcc, s10, v56
	v_addc_co_u32_e32 v59, vcc, 0, v126, vcc
	v_add_co_u32_e32 v56, vcc, s11, v58
	v_addc_co_u32_e32 v57, vcc, 0, v59, vcc
	;; [unrolled: 2-line block ×3, first 2 shown]
	global_load_dwordx4 v[156:159], v[58:59], off offset:960
	global_load_dwordx4 v[160:163], v[56:57], off offset:16
	s_waitcnt vmcnt(1) lgkmcnt(4)
	v_mul_f64 v[56:57], v[54:55], v[158:159]
	v_fma_f64 v[56:57], v[52:53], v[156:157], -v[56:57]
	v_mul_f64 v[52:53], v[52:53], v[158:159]
	v_fmac_f64_e32 v[52:53], v[54:55], v[156:157]
	s_waitcnt vmcnt(0) lgkmcnt(3)
	v_mul_f64 v[54:55], v[50:51], v[162:163]
	v_fma_f64 v[54:55], v[48:49], v[160:161], -v[54:55]
	v_mul_f64 v[48:49], v[48:49], v[162:163]
	v_fmac_f64_e32 v[48:49], v[50:51], v[160:161]
	v_lshlrev_b32_e32 v50, 5, v184
	v_add_co_u32_e32 v58, vcc, s10, v50
	v_addc_co_u32_e32 v59, vcc, 0, v126, vcc
	v_add_co_u32_e32 v50, vcc, s11, v58
	v_addc_co_u32_e32 v51, vcc, 0, v59, vcc
	;; [unrolled: 2-line block ×3, first 2 shown]
	global_load_dwordx4 v[148:151], v[58:59], off offset:960
	global_load_dwordx4 v[152:155], v[50:51], off offset:16
	s_mov_b32 s10, 0xfd20
	s_waitcnt vmcnt(1) lgkmcnt(1)
	v_mul_f64 v[50:51], v[46:47], v[150:151]
	v_fma_f64 v[50:51], v[44:45], v[148:149], -v[50:51]
	v_mul_f64 v[44:45], v[44:45], v[150:151]
	v_fmac_f64_e32 v[44:45], v[46:47], v[148:149]
	s_waitcnt vmcnt(0) lgkmcnt(0)
	v_mul_f64 v[46:47], v[42:43], v[154:155]
	v_fma_f64 v[46:47], v[40:41], v[152:153], -v[46:47]
	v_mul_f64 v[40:41], v[40:41], v[154:155]
	v_fmac_f64_e32 v[40:41], v[42:43], v[152:153]
	v_add_f64 v[42:43], v[36:37], v[120:121]
	v_add_f64 v[116:117], v[42:43], v[124:125]
	v_add_f64 v[42:43], v[120:121], v[124:125]
	v_fmac_f64_e32 v[36:37], -0.5, v[42:43]
	v_add_f64 v[42:43], v[122:123], -v[112:113]
	v_fma_f64 v[108:109], s[2:3], v[42:43], v[36:37]
	v_fmac_f64_e32 v[36:37], s[4:5], v[42:43]
	v_add_f64 v[42:43], v[38:39], v[122:123]
	v_add_f64 v[118:119], v[42:43], v[112:113]
	v_add_f64 v[42:43], v[122:123], v[112:113]
	v_fmac_f64_e32 v[38:39], -0.5, v[42:43]
	v_add_f64 v[42:43], v[120:121], -v[124:125]
	v_fma_f64 v[110:111], s[4:5], v[42:43], v[38:39]
	;; [unrolled: 7-line block ×20, first 2 shown]
	v_fmac_f64_e32 v[2:3], s[2:3], v[40:41]
	ds_write_b128 v187, v[116:119]
	ds_write_b128 v187, v[108:111] offset:21600
	ds_write_b128 v187, v[36:39] offset:43200
	;; [unrolled: 1-line block ×29, first 2 shown]
	s_waitcnt lgkmcnt(0)
	s_barrier
	global_load_dwordx4 v[4:7], v[248:249], off offset:3360
	ds_read_b128 v[0:3], v187
	v_add_co_u32_e32 v16, vcc, s10, v252
	v_addc_co_u32_e32 v17, vcc, 0, v253, vcc
	s_mov_b32 s10, 0x11000
	v_add_co_u32_e32 v12, vcc, s10, v252
	v_addc_co_u32_e32 v13, vcc, 0, v253, vcc
	s_mov_b32 s10, 0x12000
	s_waitcnt vmcnt(0) lgkmcnt(0)
	v_mul_f64 v[8:9], v[2:3], v[6:7]
	v_mul_f64 v[10:11], v[0:1], v[6:7]
	v_fma_f64 v[8:9], v[0:1], v[4:5], -v[8:9]
	v_fmac_f64_e32 v[10:11], v[2:3], v[4:5]
	global_load_dwordx4 v[4:7], v[12:13], off offset:1648
	ds_read_b128 v[0:3], v187 offset:6480
	ds_write_b128 v187, v[8:11]
	s_waitcnt vmcnt(0) lgkmcnt(1)
	v_mul_f64 v[8:9], v[2:3], v[6:7]
	v_mul_f64 v[10:11], v[0:1], v[6:7]
	v_fma_f64 v[8:9], v[0:1], v[4:5], -v[8:9]
	v_fmac_f64_e32 v[10:11], v[2:3], v[4:5]
	ds_write_b128 v187, v[8:11] offset:6480
	v_add_co_u32_e32 v10, vcc, s10, v252
	v_addc_co_u32_e32 v11, vcc, 0, v253, vcc
	global_load_dwordx4 v[4:7], v[10:11], off offset:4032
	ds_read_b128 v[0:3], v187 offset:12960
	s_mov_b32 s10, 0x14000
	s_waitcnt vmcnt(0) lgkmcnt(0)
	v_mul_f64 v[8:9], v[2:3], v[6:7]
	v_fma_f64 v[18:19], v[0:1], v[4:5], -v[8:9]
	v_add_co_u32_e32 v8, vcc, s10, v252
	v_mul_f64 v[20:21], v[0:1], v[6:7]
	v_addc_co_u32_e32 v9, vcc, 0, v253, vcc
	v_fmac_f64_e32 v[20:21], v[2:3], v[4:5]
	global_load_dwordx4 v[4:7], v[8:9], off offset:2320
	ds_read_b128 v[0:3], v187 offset:19440
	s_mov_b32 s10, 0x16000
	ds_write_b128 v187, v[18:21] offset:12960
	s_waitcnt vmcnt(0) lgkmcnt(1)
	v_mul_f64 v[14:15], v[2:3], v[6:7]
	v_fma_f64 v[18:19], v[0:1], v[4:5], -v[14:15]
	v_add_co_u32_e32 v14, vcc, s10, v252
	v_mul_f64 v[20:21], v[0:1], v[6:7]
	v_addc_co_u32_e32 v15, vcc, 0, v253, vcc
	v_fmac_f64_e32 v[20:21], v[2:3], v[4:5]
	global_load_dwordx4 v[4:7], v[14:15], off offset:608
	ds_read_b128 v[0:3], v187 offset:25920
	s_mov_b32 s10, 0x17000
	ds_write_b128 v187, v[18:21] offset:19440
	s_waitcnt vmcnt(0) lgkmcnt(1)
	v_mul_f64 v[18:19], v[2:3], v[6:7]
	v_mul_f64 v[20:21], v[0:1], v[6:7]
	v_add_co_u32_e32 v6, vcc, s10, v252
	v_fma_f64 v[18:19], v[0:1], v[4:5], -v[18:19]
	v_fmac_f64_e32 v[20:21], v[2:3], v[4:5]
	v_addc_co_u32_e32 v7, vcc, 0, v253, vcc
	ds_write_b128 v187, v[18:21] offset:25920
	global_load_dwordx4 v[18:21], v[6:7], off offset:2992
	ds_read_b128 v[0:3], v187 offset:32400
	s_mov_b32 s10, 0x19000
	s_waitcnt vmcnt(0) lgkmcnt(0)
	v_mul_f64 v[4:5], v[2:3], v[20:21]
	v_mul_f64 v[24:25], v[0:1], v[20:21]
	v_fma_f64 v[22:23], v[0:1], v[18:19], -v[4:5]
	v_fmac_f64_e32 v[24:25], v[2:3], v[18:19]
	v_add_co_u32_e32 v18, vcc, s10, v252
	v_addc_co_u32_e32 v19, vcc, 0, v253, vcc
	ds_write_b128 v187, v[22:25] offset:32400
	global_load_dwordx4 v[20:23], v[18:19], off offset:1280
	ds_read_b128 v[0:3], v187 offset:38880
	s_mov_b32 s10, 0x1a000
	s_waitcnt vmcnt(0) lgkmcnt(0)
	v_mul_f64 v[4:5], v[2:3], v[22:23]
	v_fma_f64 v[24:25], v[0:1], v[20:21], -v[4:5]
	v_add_co_u32_e32 v4, vcc, s10, v252
	v_mul_f64 v[26:27], v[0:1], v[22:23]
	v_addc_co_u32_e32 v5, vcc, 0, v253, vcc
	v_fmac_f64_e32 v[26:27], v[2:3], v[20:21]
	global_load_dwordx4 v[20:23], v[4:5], off offset:3664
	ds_read_b128 v[0:3], v187 offset:45360
	ds_write_b128 v187, v[24:27] offset:38880
	s_mov_b32 s10, 0x1c000
	s_waitcnt vmcnt(0) lgkmcnt(1)
	v_mul_f64 v[24:25], v[2:3], v[22:23]
	v_mul_f64 v[26:27], v[0:1], v[22:23]
	v_fma_f64 v[24:25], v[0:1], v[20:21], -v[24:25]
	v_fmac_f64_e32 v[26:27], v[2:3], v[20:21]
	v_add_co_u32_e32 v20, vcc, s10, v252
	v_addc_co_u32_e32 v21, vcc, 0, v253, vcc
	global_load_dwordx4 v[20:23], v[20:21], off offset:1952
	ds_read_b128 v[0:3], v187 offset:51840
	ds_write_b128 v187, v[24:27] offset:45360
	s_mov_b32 s10, 0x1e000
	s_waitcnt vmcnt(0) lgkmcnt(1)
	v_mul_f64 v[24:25], v[2:3], v[22:23]
	v_mul_f64 v[26:27], v[0:1], v[22:23]
	v_fma_f64 v[24:25], v[0:1], v[20:21], -v[24:25]
	v_fmac_f64_e32 v[26:27], v[2:3], v[20:21]
	v_add_co_u32_e32 v20, vcc, s10, v252
	v_addc_co_u32_e32 v21, vcc, 0, v253, vcc
	ds_write_b128 v187, v[24:27] offset:51840
	global_load_dwordx4 v[22:25], v[20:21], off offset:240
	ds_read_b128 v[0:3], v187 offset:58320
	s_mov_b32 s10, 0x13000
	s_waitcnt vmcnt(0) lgkmcnt(0)
	v_mul_f64 v[26:27], v[2:3], v[24:25]
	v_mul_f64 v[28:29], v[0:1], v[24:25]
	v_fma_f64 v[26:27], v[0:1], v[22:23], -v[26:27]
	v_fmac_f64_e32 v[28:29], v[2:3], v[22:23]
	global_load_dwordx4 v[22:25], v[16:17], off offset:2160
	ds_read_b128 v[0:3], v187 offset:2160
	ds_write_b128 v187, v[26:29] offset:58320
	s_waitcnt vmcnt(0) lgkmcnt(1)
	v_mul_f64 v[16:17], v[2:3], v[24:25]
	v_mul_f64 v[28:29], v[0:1], v[24:25]
	v_fma_f64 v[26:27], v[0:1], v[22:23], -v[16:17]
	v_fmac_f64_e32 v[28:29], v[2:3], v[22:23]
	global_load_dwordx4 v[22:25], v[12:13], off offset:3808
	ds_read_b128 v[0:3], v187 offset:8640
	ds_write_b128 v187, v[26:29] offset:2160
	s_waitcnt vmcnt(0) lgkmcnt(1)
	v_mul_f64 v[12:13], v[2:3], v[24:25]
	v_fma_f64 v[26:27], v[0:1], v[22:23], -v[12:13]
	v_add_co_u32_e32 v12, vcc, s10, v252
	v_mul_f64 v[28:29], v[0:1], v[24:25]
	v_addc_co_u32_e32 v13, vcc, 0, v253, vcc
	v_fmac_f64_e32 v[28:29], v[2:3], v[22:23]
	global_load_dwordx4 v[22:25], v[12:13], off offset:2096
	ds_read_b128 v[0:3], v187 offset:15120
	ds_write_b128 v187, v[26:29] offset:8640
	s_mov_b32 s10, 0x15000
	s_waitcnt vmcnt(0) lgkmcnt(1)
	v_mul_f64 v[12:13], v[2:3], v[24:25]
	v_mul_f64 v[28:29], v[0:1], v[24:25]
	v_fma_f64 v[26:27], v[0:1], v[22:23], -v[12:13]
	v_fmac_f64_e32 v[28:29], v[2:3], v[22:23]
	v_add_co_u32_e32 v22, vcc, s10, v252
	v_addc_co_u32_e32 v23, vcc, 0, v253, vcc
	ds_write_b128 v187, v[26:29] offset:15120
	global_load_dwordx4 v[24:27], v[22:23], off offset:384
	ds_read_b128 v[0:3], v187 offset:21600
	s_mov_b32 s10, 0x18000
	s_waitcnt vmcnt(0) lgkmcnt(0)
	v_mul_f64 v[12:13], v[2:3], v[26:27]
	v_fma_f64 v[28:29], v[0:1], v[24:25], -v[12:13]
	global_load_dwordx4 v[12:15], v[14:15], off offset:2768
	v_mul_f64 v[30:31], v[0:1], v[26:27]
	v_fmac_f64_e32 v[30:31], v[2:3], v[24:25]
	ds_read_b128 v[0:3], v187 offset:28080
	ds_write_b128 v187, v[28:31] offset:21600
	s_waitcnt vmcnt(0) lgkmcnt(1)
	v_mul_f64 v[16:17], v[2:3], v[14:15]
	v_fma_f64 v[24:25], v[0:1], v[12:13], -v[16:17]
	v_add_co_u32_e32 v16, vcc, s10, v252
	v_mul_f64 v[26:27], v[0:1], v[14:15]
	v_addc_co_u32_e32 v17, vcc, 0, v253, vcc
	v_fmac_f64_e32 v[26:27], v[2:3], v[12:13]
	global_load_dwordx4 v[12:15], v[16:17], off offset:1056
	ds_read_b128 v[0:3], v187 offset:34560
	ds_write_b128 v187, v[24:27] offset:28080
	s_mov_b32 s10, 0x1b000
	s_waitcnt vmcnt(0) lgkmcnt(1)
	v_mul_f64 v[24:25], v[2:3], v[14:15]
	v_mul_f64 v[26:27], v[0:1], v[14:15]
	v_fma_f64 v[24:25], v[0:1], v[12:13], -v[24:25]
	v_fmac_f64_e32 v[26:27], v[2:3], v[12:13]
	global_load_dwordx4 v[12:15], v[18:19], off offset:3440
	ds_read_b128 v[0:3], v187 offset:41040
	ds_write_b128 v187, v[24:27] offset:34560
	s_waitcnt vmcnt(0) lgkmcnt(1)
	v_mul_f64 v[18:19], v[2:3], v[14:15]
	v_mul_f64 v[26:27], v[0:1], v[14:15]
	v_add_co_u32_e32 v14, vcc, s10, v252
	v_fma_f64 v[24:25], v[0:1], v[12:13], -v[18:19]
	v_fmac_f64_e32 v[26:27], v[2:3], v[12:13]
	v_addc_co_u32_e32 v15, vcc, 0, v253, vcc
	ds_write_b128 v187, v[24:27] offset:41040
	global_load_dwordx4 v[24:27], v[14:15], off offset:1728
	ds_read_b128 v[0:3], v187 offset:47520
	s_mov_b32 s10, 0x1d000
	s_waitcnt vmcnt(0) lgkmcnt(0)
	v_mul_f64 v[12:13], v[2:3], v[26:27]
	v_fma_f64 v[28:29], v[0:1], v[24:25], -v[12:13]
	v_add_co_u32_e32 v12, vcc, s10, v252
	v_mul_f64 v[30:31], v[0:1], v[26:27]
	v_addc_co_u32_e32 v13, vcc, 0, v253, vcc
	v_fmac_f64_e32 v[30:31], v[2:3], v[24:25]
	global_load_dwordx4 v[24:27], v[12:13], off offset:16
	ds_read_b128 v[0:3], v187 offset:54000
	ds_write_b128 v187, v[28:31] offset:47520
	s_mov_b32 s10, 0x10000
	s_waitcnt vmcnt(0) lgkmcnt(1)
	v_mul_f64 v[18:19], v[2:3], v[26:27]
	v_fma_f64 v[28:29], v[0:1], v[24:25], -v[18:19]
	global_load_dwordx4 v[18:21], v[20:21], off offset:2400
	v_mul_f64 v[30:31], v[0:1], v[26:27]
	v_fmac_f64_e32 v[30:31], v[2:3], v[24:25]
	ds_read_b128 v[0:3], v187 offset:60480
	ds_write_b128 v187, v[28:31] offset:54000
	s_waitcnt vmcnt(0) lgkmcnt(1)
	v_mul_f64 v[24:25], v[2:3], v[20:21]
	v_mul_f64 v[26:27], v[0:1], v[20:21]
	v_fma_f64 v[24:25], v[0:1], v[18:19], -v[24:25]
	v_fmac_f64_e32 v[26:27], v[2:3], v[18:19]
	v_add_co_u32_e32 v18, vcc, s10, v252
	v_addc_co_u32_e32 v19, vcc, 0, v253, vcc
	global_load_dwordx4 v[18:21], v[18:19], off offset:3584
	ds_read_b128 v[0:3], v187 offset:4320
	ds_write_b128 v187, v[24:27] offset:60480
	s_mov_b32 s10, 0x1f000
	s_waitcnt vmcnt(0) lgkmcnt(1)
	v_mul_f64 v[24:25], v[2:3], v[20:21]
	v_mul_f64 v[26:27], v[0:1], v[20:21]
	v_fma_f64 v[24:25], v[0:1], v[18:19], -v[24:25]
	v_fmac_f64_e32 v[26:27], v[2:3], v[18:19]
	global_load_dwordx4 v[18:21], v[10:11], off offset:1872
	ds_read_b128 v[0:3], v187 offset:10800
	ds_write_b128 v187, v[24:27] offset:4320
	s_waitcnt vmcnt(0) lgkmcnt(1)
	v_mul_f64 v[10:11], v[2:3], v[20:21]
	v_fma_f64 v[24:25], v[0:1], v[18:19], -v[10:11]
	global_load_dwordx4 v[8:11], v[8:9], off offset:160
	v_mul_f64 v[26:27], v[0:1], v[20:21]
	v_fmac_f64_e32 v[26:27], v[2:3], v[18:19]
	ds_read_b128 v[0:3], v187 offset:17280
	ds_write_b128 v187, v[24:27] offset:10800
	s_waitcnt vmcnt(0) lgkmcnt(1)
	v_mul_f64 v[18:19], v[2:3], v[10:11]
	v_mul_f64 v[20:21], v[0:1], v[10:11]
	v_fma_f64 v[18:19], v[0:1], v[8:9], -v[18:19]
	v_fmac_f64_e32 v[20:21], v[2:3], v[8:9]
	global_load_dwordx4 v[8:11], v[22:23], off offset:2544
	ds_read_b128 v[0:3], v187 offset:23760
	ds_write_b128 v187, v[18:21] offset:17280
	s_waitcnt vmcnt(0) lgkmcnt(1)
	v_mul_f64 v[18:19], v[2:3], v[10:11]
	v_mul_f64 v[20:21], v[0:1], v[10:11]
	v_fma_f64 v[18:19], v[0:1], v[8:9], -v[18:19]
	v_fmac_f64_e32 v[20:21], v[2:3], v[8:9]
	global_load_dwordx4 v[6:9], v[6:7], off offset:832
	;; [unrolled: 8-line block ×6, first 2 shown]
	ds_read_b128 v[0:3], v187 offset:56160
	ds_write_b128 v187, v[8:11] offset:49680
	s_waitcnt vmcnt(0) lgkmcnt(1)
	v_mul_f64 v[8:9], v[2:3], v[6:7]
	v_mul_f64 v[10:11], v[0:1], v[6:7]
	v_fma_f64 v[8:9], v[0:1], v[4:5], -v[8:9]
	v_fmac_f64_e32 v[10:11], v[2:3], v[4:5]
	v_add_co_u32_e32 v4, vcc, s10, v252
	v_addc_co_u32_e32 v5, vcc, 0, v253, vcc
	global_load_dwordx4 v[4:7], v[4:5], off offset:464
	ds_read_b128 v[0:3], v187 offset:62640
	ds_write_b128 v187, v[8:11] offset:56160
	s_waitcnt vmcnt(0) lgkmcnt(1)
	v_mul_f64 v[8:9], v[2:3], v[6:7]
	v_mul_f64 v[10:11], v[0:1], v[6:7]
	v_fma_f64 v[8:9], v[0:1], v[4:5], -v[8:9]
	v_fmac_f64_e32 v[10:11], v[2:3], v[4:5]
	ds_write_b128 v187, v[8:11] offset:62640
	s_waitcnt lgkmcnt(0)
	s_barrier
	ds_read_b128 v[24:27], v187
	ds_read_b128 v[60:63], v187 offset:6480
	ds_read_b128 v[10:13], v187 offset:12960
	;; [unrolled: 1-line block ×29, first 2 shown]
	s_waitcnt lgkmcnt(14)
	v_add_f64 v[8:9], v[24:25], v[10:11]
	v_add_f64 v[8:9], v[8:9], v[126:127]
	v_add_f64 v[8:9], v[8:9], v[130:131]
	v_add_f64 v[120:121], v[8:9], v[134:135]
	v_add_f64 v[8:9], v[126:127], v[130:131]
	v_fma_f64 v[66:67], -0.5, v[8:9], v[24:25]
	v_add_f64 v[14:15], v[12:13], -v[136:137]
	v_fma_f64 v[76:77], s[16:17], v[14:15], v[66:67]
	v_add_f64 v[64:65], v[128:129], -v[132:133]
	v_add_f64 v[8:9], v[10:11], -v[126:127]
	;; [unrolled: 1-line block ×3, first 2 shown]
	v_fmac_f64_e32 v[66:67], s[6:7], v[14:15]
	v_fmac_f64_e32 v[76:77], s[18:19], v[64:65]
	v_add_f64 v[8:9], v[8:9], v[78:79]
	v_fmac_f64_e32 v[66:67], s[8:9], v[64:65]
	v_fmac_f64_e32 v[76:77], s[14:15], v[8:9]
	;; [unrolled: 1-line block ×3, first 2 shown]
	v_add_f64 v[8:9], v[10:11], v[134:135]
	v_fmac_f64_e32 v[24:25], -0.5, v[8:9]
	v_fma_f64 v[8:9], s[6:7], v[64:65], v[24:25]
	v_fmac_f64_e32 v[24:25], s[16:17], v[64:65]
	v_fmac_f64_e32 v[8:9], s[18:19], v[14:15]
	;; [unrolled: 1-line block ×3, first 2 shown]
	v_add_f64 v[14:15], v[26:27], v[12:13]
	v_add_f64 v[14:15], v[14:15], v[128:129]
	v_add_f64 v[78:79], v[126:127], -v[10:11]
	v_add_f64 v[80:81], v[130:131], -v[134:135]
	v_add_f64 v[14:15], v[14:15], v[132:133]
	v_add_f64 v[78:79], v[78:79], v[80:81]
	;; [unrolled: 1-line block ×4, first 2 shown]
	v_fmac_f64_e32 v[8:9], s[14:15], v[78:79]
	v_fmac_f64_e32 v[24:25], s[14:15], v[78:79]
	v_fma_f64 v[78:79], -0.5, v[14:15], v[26:27]
	v_add_f64 v[14:15], v[10:11], -v[134:135]
	v_fma_f64 v[10:11], s[6:7], v[14:15], v[78:79]
	v_add_f64 v[64:65], v[126:127], -v[130:131]
	v_add_f64 v[82:83], v[12:13], -v[128:129]
	;; [unrolled: 1-line block ×3, first 2 shown]
	v_fmac_f64_e32 v[78:79], s[16:17], v[14:15]
	v_fmac_f64_e32 v[10:11], s[8:9], v[64:65]
	v_add_f64 v[82:83], v[82:83], v[126:127]
	v_fmac_f64_e32 v[78:79], s[18:19], v[64:65]
	v_fmac_f64_e32 v[10:11], s[14:15], v[82:83]
	;; [unrolled: 1-line block ×3, first 2 shown]
	v_add_f64 v[82:83], v[12:13], v[136:137]
	v_fmac_f64_e32 v[26:27], -0.5, v[82:83]
	v_fma_f64 v[82:83], s[16:17], v[64:65], v[26:27]
	v_add_f64 v[12:13], v[128:129], -v[12:13]
	v_add_f64 v[126:127], v[132:133], -v[136:137]
	v_fmac_f64_e32 v[26:27], s[6:7], v[64:65]
	v_fmac_f64_e32 v[82:83], s[8:9], v[14:15]
	v_add_f64 v[12:13], v[12:13], v[126:127]
	v_fmac_f64_e32 v[26:27], s[18:19], v[14:15]
	v_fmac_f64_e32 v[82:83], s[14:15], v[12:13]
	;; [unrolled: 1-line block ×3, first 2 shown]
	v_add_f64 v[12:13], v[60:61], v[28:29]
	v_add_f64 v[12:13], v[12:13], v[32:33]
	;; [unrolled: 1-line block ×5, first 2 shown]
	v_fma_f64 v[12:13], -0.5, v[12:13], v[60:61]
	v_add_f64 v[14:15], v[30:31], -v[42:43]
	v_fma_f64 v[128:129], s[16:17], v[14:15], v[12:13]
	v_add_f64 v[126:127], v[34:35], -v[38:39]
	v_add_f64 v[130:131], v[28:29], -v[32:33]
	;; [unrolled: 1-line block ×3, first 2 shown]
	v_fmac_f64_e32 v[12:13], s[6:7], v[14:15]
	v_fmac_f64_e32 v[128:129], s[18:19], v[126:127]
	v_add_f64 v[130:131], v[130:131], v[132:133]
	v_fmac_f64_e32 v[12:13], s[8:9], v[126:127]
	v_fmac_f64_e32 v[128:129], s[14:15], v[130:131]
	;; [unrolled: 1-line block ×3, first 2 shown]
	v_add_f64 v[130:131], v[28:29], v[40:41]
	v_fmac_f64_e32 v[60:61], -0.5, v[130:131]
	v_fma_f64 v[132:133], s[6:7], v[126:127], v[60:61]
	v_add_f64 v[130:131], v[32:33], -v[28:29]
	v_add_f64 v[134:135], v[36:37], -v[40:41]
	v_fmac_f64_e32 v[60:61], s[16:17], v[126:127]
	v_add_f64 v[126:127], v[34:35], v[38:39]
	v_add_f64 v[130:131], v[130:131], v[134:135]
	v_fma_f64 v[134:135], -0.5, v[126:127], v[62:63]
	v_add_f64 v[28:29], v[28:29], -v[40:41]
	v_fma_f64 v[136:137], s[6:7], v[28:29], v[134:135]
	v_add_f64 v[32:33], v[32:33], -v[36:37]
	v_add_f64 v[36:37], v[30:31], -v[34:35]
	;; [unrolled: 1-line block ×3, first 2 shown]
	v_fmac_f64_e32 v[134:135], s[16:17], v[28:29]
	v_fmac_f64_e32 v[136:137], s[8:9], v[32:33]
	v_add_f64 v[36:37], v[36:37], v[40:41]
	v_fmac_f64_e32 v[134:135], s[18:19], v[32:33]
	v_fmac_f64_e32 v[136:137], s[14:15], v[36:37]
	;; [unrolled: 1-line block ×3, first 2 shown]
	v_add_f64 v[36:37], v[30:31], v[42:43]
	v_fmac_f64_e32 v[132:133], s[18:19], v[14:15]
	v_fmac_f64_e32 v[60:61], s[8:9], v[14:15]
	v_add_f64 v[14:15], v[62:63], v[30:31]
	v_fmac_f64_e32 v[62:63], -0.5, v[36:37]
	v_add_f64 v[14:15], v[14:15], v[34:35]
	v_fma_f64 v[138:139], s[16:17], v[32:33], v[62:63]
	v_add_f64 v[30:31], v[34:35], -v[30:31]
	v_add_f64 v[34:35], v[38:39], -v[42:43]
	v_fmac_f64_e32 v[138:139], s[8:9], v[28:29]
	v_add_f64 v[30:31], v[30:31], v[34:35]
	v_fmac_f64_e32 v[62:63], s[6:7], v[32:33]
	v_fmac_f64_e32 v[138:139], s[14:15], v[30:31]
	v_fmac_f64_e32 v[62:63], s[18:19], v[28:29]
	v_fmac_f64_e32 v[132:133], s[14:15], v[130:131]
	v_fmac_f64_e32 v[62:63], s[14:15], v[30:31]
	v_mul_f64 v[140:141], v[138:139], s[16:17]
	v_mul_f64 v[146:147], v[128:129], s[8:9]
	v_fmac_f64_e32 v[60:61], s[14:15], v[130:131]
	v_mul_f64 v[30:31], v[136:137], s[18:19]
	v_fmac_f64_e32 v[140:141], s[14:15], v[132:133]
	;; [unrolled: 2-line block ×3, first 2 shown]
	v_mul_f64 v[136:137], v[138:139], s[14:15]
	v_mul_f64 v[138:139], v[62:63], s[22:23]
	v_add_f64 v[130:131], v[8:9], v[140:141]
	v_fmac_f64_e32 v[142:143], s[22:23], v[60:61]
	v_fmac_f64_e32 v[138:139], s[6:7], v[60:61]
	v_add_f64 v[60:61], v[8:9], -v[140:141]
	v_add_f64 v[8:9], v[72:73], v[104:105]
	v_add_f64 v[14:15], v[14:15], v[38:39]
	;; [unrolled: 1-line block ×4, first 2 shown]
	v_fmac_f64_e32 v[30:31], s[24:25], v[128:129]
	v_mul_f64 v[144:145], v[134:135], s[18:19]
	s_waitcnt lgkmcnt(13)
	v_add_f64 v[8:9], v[8:9], v[112:113]
	v_add_f64 v[32:33], v[120:121], v[64:65]
	;; [unrolled: 1-line block ×3, first 2 shown]
	v_fmac_f64_e32 v[144:145], s[20:21], v[12:13]
	v_add_f64 v[34:35], v[80:81], v[14:15]
	v_add_f64 v[28:29], v[120:121], -v[64:65]
	v_add_f64 v[64:65], v[76:77], -v[30:31]
	;; [unrolled: 1-line block ×3, first 2 shown]
	s_waitcnt lgkmcnt(11)
	v_add_f64 v[80:81], v[8:9], v[116:117]
	v_add_f64 v[8:9], v[108:109], v[112:113]
	;; [unrolled: 1-line block ×4, first 2 shown]
	v_fmac_f64_e32 v[136:137], s[6:7], v[132:133]
	v_mul_f64 v[134:135], v[134:135], s[20:21]
	v_add_f64 v[76:77], v[66:67], -v[144:145]
	v_add_f64 v[66:67], v[10:11], -v[146:147]
	v_fma_f64 v[8:9], -0.5, v[8:9], v[72:73]
	v_add_f64 v[10:11], v[106:107], -v[118:119]
	v_add_f64 v[132:133], v[82:83], v[136:137]
	v_fmac_f64_e32 v[134:135], s[8:9], v[12:13]
	v_add_f64 v[62:63], v[82:83], -v[136:137]
	v_fma_f64 v[120:121], s[16:17], v[10:11], v[8:9]
	v_add_f64 v[14:15], v[110:111], -v[114:115]
	v_add_f64 v[12:13], v[104:105], -v[108:109]
	;; [unrolled: 1-line block ×3, first 2 shown]
	v_fmac_f64_e32 v[8:9], s[6:7], v[10:11]
	v_fmac_f64_e32 v[120:121], s[18:19], v[14:15]
	v_add_f64 v[12:13], v[12:13], v[82:83]
	v_fmac_f64_e32 v[8:9], s[8:9], v[14:15]
	v_fmac_f64_e32 v[120:121], s[14:15], v[12:13]
	v_fmac_f64_e32 v[8:9], s[14:15], v[12:13]
	v_add_f64 v[12:13], v[104:105], v[116:117]
	v_fmac_f64_e32 v[72:73], -0.5, v[12:13]
	v_fma_f64 v[12:13], s[6:7], v[14:15], v[72:73]
	v_fmac_f64_e32 v[72:73], s[16:17], v[14:15]
	v_fmac_f64_e32 v[12:13], s[18:19], v[10:11]
	;; [unrolled: 1-line block ×3, first 2 shown]
	v_add_f64 v[10:11], v[74:75], v[106:107]
	v_add_f64 v[38:39], v[78:79], v[134:135]
	v_add_f64 v[78:79], v[78:79], -v[134:135]
	v_add_f64 v[82:83], v[108:109], -v[104:105]
	v_add_f64 v[134:135], v[112:113], -v[116:117]
	v_add_f64 v[10:11], v[10:11], v[110:111]
	v_add_f64 v[82:83], v[82:83], v[134:135]
	;; [unrolled: 1-line block ×3, first 2 shown]
	v_fmac_f64_e32 v[12:13], s[14:15], v[82:83]
	v_fmac_f64_e32 v[72:73], s[14:15], v[82:83]
	v_add_f64 v[82:83], v[10:11], v[118:119]
	v_add_f64 v[10:11], v[110:111], v[114:115]
	v_fma_f64 v[10:11], -0.5, v[10:11], v[74:75]
	v_add_f64 v[104:105], v[104:105], -v[116:117]
	v_fma_f64 v[254:255], s[6:7], v[104:105], v[10:11]
	v_add_f64 v[108:109], v[108:109], -v[112:113]
	v_add_f64 v[14:15], v[106:107], -v[110:111]
	;; [unrolled: 1-line block ×3, first 2 shown]
	v_fmac_f64_e32 v[10:11], s[16:17], v[104:105]
	v_fmac_f64_e32 v[254:255], s[8:9], v[108:109]
	v_add_f64 v[14:15], v[14:15], v[112:113]
	v_fmac_f64_e32 v[10:11], s[18:19], v[108:109]
	v_fmac_f64_e32 v[254:255], s[14:15], v[14:15]
	;; [unrolled: 1-line block ×3, first 2 shown]
	v_add_f64 v[14:15], v[106:107], v[118:119]
	v_fmac_f64_e32 v[74:75], -0.5, v[14:15]
	v_fma_f64 v[14:15], s[16:17], v[108:109], v[74:75]
	v_fmac_f64_e32 v[74:75], s[6:7], v[108:109]
	v_fmac_f64_e32 v[14:15], s[8:9], v[104:105]
	;; [unrolled: 1-line block ×3, first 2 shown]
	v_add_f64 v[104:105], v[84:85], v[88:89]
	v_add_f64 v[104:105], v[104:105], v[92:93]
	;; [unrolled: 1-line block ×3, first 2 shown]
	v_add_f64 v[106:107], v[110:111], -v[106:107]
	v_add_f64 v[110:111], v[114:115], -v[118:119]
	s_waitcnt lgkmcnt(10)
	v_add_f64 v[108:109], v[104:105], v[100:101]
	v_add_f64 v[104:105], v[92:93], v[96:97]
	;; [unrolled: 1-line block ×3, first 2 shown]
	v_fma_f64 v[110:111], -0.5, v[104:105], v[84:85]
	v_add_f64 v[104:105], v[90:91], -v[102:103]
	v_fmac_f64_e32 v[14:15], s[14:15], v[106:107]
	v_fmac_f64_e32 v[74:75], s[14:15], v[106:107]
	v_fma_f64 v[106:107], s[16:17], v[104:105], v[110:111]
	v_add_f64 v[112:113], v[94:95], -v[98:99]
	v_add_f64 v[114:115], v[88:89], -v[92:93]
	;; [unrolled: 1-line block ×3, first 2 shown]
	v_fmac_f64_e32 v[110:111], s[6:7], v[104:105]
	v_fmac_f64_e32 v[106:107], s[18:19], v[112:113]
	v_add_f64 v[114:115], v[114:115], v[116:117]
	v_fmac_f64_e32 v[110:111], s[8:9], v[112:113]
	v_fmac_f64_e32 v[106:107], s[14:15], v[114:115]
	;; [unrolled: 1-line block ×3, first 2 shown]
	v_add_f64 v[114:115], v[88:89], v[100:101]
	v_fmac_f64_e32 v[84:85], -0.5, v[114:115]
	v_fma_f64 v[116:117], s[6:7], v[112:113], v[84:85]
	v_fmac_f64_e32 v[84:85], s[16:17], v[112:113]
	v_fmac_f64_e32 v[116:117], s[18:19], v[104:105]
	v_fmac_f64_e32 v[84:85], s[8:9], v[104:105]
	v_add_f64 v[104:105], v[86:87], v[90:91]
	v_add_f64 v[114:115], v[92:93], -v[88:89]
	v_add_f64 v[118:119], v[96:97], -v[100:101]
	v_add_f64 v[104:105], v[104:105], v[94:95]
	v_add_f64 v[114:115], v[114:115], v[118:119]
	;; [unrolled: 1-line block ×3, first 2 shown]
	v_fmac_f64_e32 v[116:117], s[14:15], v[114:115]
	v_fmac_f64_e32 v[84:85], s[14:15], v[114:115]
	v_add_f64 v[114:115], v[104:105], v[102:103]
	v_add_f64 v[104:105], v[94:95], v[98:99]
	v_fma_f64 v[112:113], -0.5, v[104:105], v[86:87]
	v_add_f64 v[88:89], v[88:89], -v[100:101]
	v_fma_f64 v[118:119], s[6:7], v[88:89], v[112:113]
	v_add_f64 v[92:93], v[92:93], -v[96:97]
	v_add_f64 v[96:97], v[90:91], -v[94:95]
	;; [unrolled: 1-line block ×3, first 2 shown]
	v_fmac_f64_e32 v[112:113], s[16:17], v[88:89]
	v_fmac_f64_e32 v[118:119], s[8:9], v[92:93]
	v_add_f64 v[96:97], v[96:97], v[100:101]
	v_fmac_f64_e32 v[112:113], s[18:19], v[92:93]
	v_fmac_f64_e32 v[118:119], s[14:15], v[96:97]
	v_fmac_f64_e32 v[112:113], s[14:15], v[96:97]
	v_add_f64 v[96:97], v[90:91], v[102:103]
	v_fmac_f64_e32 v[86:87], -0.5, v[96:97]
	v_fma_f64 v[134:135], s[16:17], v[92:93], v[86:87]
	v_add_f64 v[90:91], v[94:95], -v[90:91]
	v_add_f64 v[94:95], v[98:99], -v[102:103]
	v_fmac_f64_e32 v[86:87], s[6:7], v[92:93]
	v_add_f64 v[90:91], v[90:91], v[94:95]
	v_fmac_f64_e32 v[86:87], s[18:19], v[88:89]
	v_fmac_f64_e32 v[134:135], s[8:9], v[88:89]
	;; [unrolled: 1-line block ×3, first 2 shown]
	v_add_f64 v[40:41], v[24:25], v[142:143]
	v_add_f64 v[24:25], v[24:25], -v[142:143]
	v_fmac_f64_e32 v[134:135], s[14:15], v[90:91]
	v_mul_f64 v[140:141], v[86:87], s[16:17]
	v_mul_f64 v[142:143], v[112:113], s[18:19]
	;; [unrolled: 1-line block ×3, first 2 shown]
	v_add_f64 v[42:43], v[26:27], v[138:139]
	v_add_f64 v[26:27], v[26:27], -v[138:139]
	v_mul_f64 v[136:137], v[118:119], s[18:19]
	v_mul_f64 v[138:139], v[134:135], s[16:17]
	v_fmac_f64_e32 v[140:141], s[22:23], v[84:85]
	v_fmac_f64_e32 v[142:143], s[20:21], v[110:111]
	v_fmac_f64_e32 v[144:145], s[24:25], v[118:119]
	v_mul_f64 v[118:119], v[134:135], s[14:15]
	v_fmac_f64_e32 v[138:139], s[14:15], v[116:117]
	v_add_f64 v[104:105], v[72:73], v[140:141]
	v_add_f64 v[100:101], v[8:9], v[142:143]
	v_fmac_f64_e32 v[118:119], s[6:7], v[116:117]
	v_add_f64 v[116:117], v[72:73], -v[140:141]
	v_add_f64 v[72:73], v[8:9], -v[142:143]
	s_waitcnt lgkmcnt(7)
	v_add_f64 v[8:9], v[0:1], v[44:45]
	s_waitcnt lgkmcnt(5)
	v_add_f64 v[8:9], v[8:9], v[48:49]
	v_fmac_f64_e32 v[136:137], s[24:25], v[106:107]
	v_mul_f64 v[134:135], v[86:87], s[22:23]
	v_mul_f64 v[146:147], v[112:113], s[20:21]
	s_waitcnt lgkmcnt(3)
	v_add_f64 v[8:9], v[8:9], v[52:53]
	v_add_f64 v[96:97], v[80:81], v[108:109]
	;; [unrolled: 1-line block ×3, first 2 shown]
	v_fmac_f64_e32 v[134:135], s[6:7], v[84:85]
	v_fmac_f64_e32 v[146:147], s[8:9], v[110:111]
	v_add_f64 v[112:113], v[80:81], -v[108:109]
	v_add_f64 v[108:109], v[120:121], -v[136:137]
	s_waitcnt lgkmcnt(1)
	v_add_f64 v[120:121], v[8:9], v[56:57]
	v_add_f64 v[8:9], v[48:49], v[52:53]
	;; [unrolled: 1-line block ×5, first 2 shown]
	v_add_f64 v[86:87], v[14:15], -v[118:119]
	v_add_f64 v[118:119], v[74:75], -v[134:135]
	;; [unrolled: 1-line block ×3, first 2 shown]
	v_fma_f64 v[80:81], -0.5, v[8:9], v[0:1]
	v_add_f64 v[10:11], v[46:47], -v[58:59]
	v_add_f64 v[88:89], v[12:13], v[138:139]
	v_add_f64 v[98:99], v[82:83], v[114:115]
	v_add_f64 v[84:85], v[12:13], -v[138:139]
	v_add_f64 v[114:115], v[82:83], -v[114:115]
	v_fma_f64 v[8:9], s[16:17], v[10:11], v[80:81]
	v_add_f64 v[14:15], v[50:51], -v[54:55]
	v_add_f64 v[12:13], v[44:45], -v[48:49]
	;; [unrolled: 1-line block ×3, first 2 shown]
	v_fmac_f64_e32 v[80:81], s[6:7], v[10:11]
	v_fmac_f64_e32 v[8:9], s[18:19], v[14:15]
	v_add_f64 v[12:13], v[12:13], v[82:83]
	v_fmac_f64_e32 v[80:81], s[8:9], v[14:15]
	v_fmac_f64_e32 v[8:9], s[14:15], v[12:13]
	;; [unrolled: 1-line block ×3, first 2 shown]
	v_add_f64 v[12:13], v[44:45], v[56:57]
	v_fmac_f64_e32 v[0:1], -0.5, v[12:13]
	v_fma_f64 v[12:13], s[6:7], v[14:15], v[0:1]
	v_fmac_f64_e32 v[0:1], s[16:17], v[14:15]
	v_fmac_f64_e32 v[12:13], s[18:19], v[10:11]
	;; [unrolled: 1-line block ×3, first 2 shown]
	v_add_f64 v[10:11], v[2:3], v[46:47]
	v_add_f64 v[10:11], v[10:11], v[50:51]
	v_add_f64 v[82:83], v[48:49], -v[44:45]
	v_add_f64 v[134:135], v[52:53], -v[56:57]
	v_add_f64 v[10:11], v[10:11], v[54:55]
	v_add_f64 v[94:95], v[254:255], v[144:145]
	v_add_f64 v[110:111], v[254:255], -v[144:145]
	v_add_f64 v[82:83], v[82:83], v[134:135]
	v_add_f64 v[254:255], v[10:11], v[58:59]
	;; [unrolled: 1-line block ×3, first 2 shown]
	v_fmac_f64_e32 v[12:13], s[14:15], v[82:83]
	v_fmac_f64_e32 v[0:1], s[14:15], v[82:83]
	v_fma_f64 v[82:83], -0.5, v[10:11], v[2:3]
	v_add_f64 v[44:45], v[44:45], -v[56:57]
	v_fma_f64 v[10:11], s[6:7], v[44:45], v[82:83]
	v_add_f64 v[48:49], v[48:49], -v[52:53]
	v_add_f64 v[14:15], v[46:47], -v[50:51]
	;; [unrolled: 1-line block ×3, first 2 shown]
	v_fmac_f64_e32 v[82:83], s[16:17], v[44:45]
	v_fmac_f64_e32 v[10:11], s[8:9], v[48:49]
	v_add_f64 v[14:15], v[14:15], v[52:53]
	v_fmac_f64_e32 v[82:83], s[18:19], v[48:49]
	v_fmac_f64_e32 v[10:11], s[14:15], v[14:15]
	;; [unrolled: 1-line block ×3, first 2 shown]
	v_add_f64 v[14:15], v[46:47], v[58:59]
	v_fmac_f64_e32 v[2:3], -0.5, v[14:15]
	v_fma_f64 v[14:15], s[16:17], v[48:49], v[2:3]
	v_fmac_f64_e32 v[2:3], s[6:7], v[48:49]
	v_fmac_f64_e32 v[14:15], s[8:9], v[44:45]
	;; [unrolled: 1-line block ×3, first 2 shown]
	v_add_f64 v[44:45], v[4:5], v[122:123]
	v_add_f64 v[44:45], v[44:45], v[68:69]
	;; [unrolled: 1-line block ×3, first 2 shown]
	v_add_f64 v[46:47], v[50:51], -v[46:47]
	v_add_f64 v[50:51], v[54:55], -v[58:59]
	s_waitcnt lgkmcnt(0)
	v_add_f64 v[48:49], v[44:45], v[20:21]
	v_add_f64 v[44:45], v[68:69], v[16:17]
	v_add_f64 v[46:47], v[46:47], v[50:51]
	v_fma_f64 v[50:51], -0.5, v[44:45], v[4:5]
	v_add_f64 v[44:45], v[124:125], -v[22:23]
	v_fmac_f64_e32 v[14:15], s[14:15], v[46:47]
	v_fmac_f64_e32 v[2:3], s[14:15], v[46:47]
	v_fma_f64 v[46:47], s[16:17], v[44:45], v[50:51]
	v_add_f64 v[52:53], v[70:71], -v[18:19]
	v_add_f64 v[54:55], v[122:123], -v[68:69]
	;; [unrolled: 1-line block ×3, first 2 shown]
	v_fmac_f64_e32 v[50:51], s[6:7], v[44:45]
	v_fmac_f64_e32 v[46:47], s[18:19], v[52:53]
	v_add_f64 v[54:55], v[54:55], v[56:57]
	v_fmac_f64_e32 v[50:51], s[8:9], v[52:53]
	v_fmac_f64_e32 v[46:47], s[14:15], v[54:55]
	;; [unrolled: 1-line block ×3, first 2 shown]
	v_add_f64 v[54:55], v[122:123], v[20:21]
	v_fmac_f64_e32 v[4:5], -0.5, v[54:55]
	v_fma_f64 v[56:57], s[6:7], v[52:53], v[4:5]
	v_fmac_f64_e32 v[4:5], s[16:17], v[52:53]
	v_fmac_f64_e32 v[56:57], s[18:19], v[44:45]
	;; [unrolled: 1-line block ×3, first 2 shown]
	v_add_f64 v[44:45], v[6:7], v[124:125]
	v_add_f64 v[54:55], v[68:69], -v[122:123]
	v_add_f64 v[58:59], v[16:17], -v[20:21]
	v_add_f64 v[44:45], v[44:45], v[70:71]
	v_add_f64 v[54:55], v[54:55], v[58:59]
	;; [unrolled: 1-line block ×3, first 2 shown]
	v_fmac_f64_e32 v[56:57], s[14:15], v[54:55]
	v_fmac_f64_e32 v[4:5], s[14:15], v[54:55]
	v_add_f64 v[54:55], v[44:45], v[22:23]
	v_add_f64 v[44:45], v[70:71], v[18:19]
	v_fma_f64 v[52:53], -0.5, v[44:45], v[6:7]
	v_add_f64 v[20:21], v[122:123], -v[20:21]
	v_fma_f64 v[58:59], s[6:7], v[20:21], v[52:53]
	v_add_f64 v[16:17], v[68:69], -v[16:17]
	v_add_f64 v[44:45], v[124:125], -v[70:71]
	;; [unrolled: 1-line block ×3, first 2 shown]
	v_fmac_f64_e32 v[52:53], s[16:17], v[20:21]
	v_fmac_f64_e32 v[58:59], s[8:9], v[16:17]
	v_add_f64 v[44:45], v[44:45], v[68:69]
	v_fmac_f64_e32 v[52:53], s[18:19], v[16:17]
	v_fmac_f64_e32 v[58:59], s[14:15], v[44:45]
	;; [unrolled: 1-line block ×3, first 2 shown]
	v_add_f64 v[44:45], v[124:125], v[22:23]
	v_fmac_f64_e32 v[6:7], -0.5, v[44:45]
	v_fma_f64 v[134:135], s[16:17], v[16:17], v[6:7]
	v_add_f64 v[44:45], v[70:71], -v[124:125]
	v_add_f64 v[18:19], v[18:19], -v[22:23]
	v_fmac_f64_e32 v[6:7], s[6:7], v[16:17]
	v_fmac_f64_e32 v[134:135], s[8:9], v[20:21]
	v_add_f64 v[18:19], v[44:45], v[18:19]
	v_fmac_f64_e32 v[6:7], s[18:19], v[20:21]
	v_fmac_f64_e32 v[134:135], s[14:15], v[18:19]
	;; [unrolled: 1-line block ×3, first 2 shown]
	v_mul_f64 v[144:145], v[46:47], s[8:9]
	v_mul_f64 v[136:137], v[58:59], s[18:19]
	v_mul_f64 v[138:139], v[134:135], s[16:17]
	v_mul_f64 v[140:141], v[6:7], s[16:17]
	v_fmac_f64_e32 v[144:145], s[24:25], v[58:59]
	v_mul_f64 v[58:59], v[134:135], s[14:15]
	v_mul_f64 v[134:135], v[6:7], s[22:23]
	;; [unrolled: 1-line block ×3, first 2 shown]
	v_fmac_f64_e32 v[136:137], s[24:25], v[46:47]
	v_fmac_f64_e32 v[138:139], s[14:15], v[56:57]
	;; [unrolled: 1-line block ×3, first 2 shown]
	v_mul_f64 v[142:143], v[52:53], s[18:19]
	v_fmac_f64_e32 v[58:59], s[6:7], v[56:57]
	v_fmac_f64_e32 v[134:135], s[6:7], v[4:5]
	;; [unrolled: 1-line block ×3, first 2 shown]
	v_add_f64 v[16:17], v[120:121], v[48:49]
	v_add_f64 v[122:123], v[8:9], v[136:137]
	;; [unrolled: 1-line block ×3, first 2 shown]
	v_fmac_f64_e32 v[142:143], s[20:21], v[50:51]
	v_add_f64 v[18:19], v[254:255], v[54:55]
	v_add_f64 v[124:125], v[10:11], v[144:145]
	;; [unrolled: 1-line block ×4, first 2 shown]
	v_add_f64 v[52:53], v[120:121], -v[48:49]
	v_add_f64 v[48:49], v[8:9], -v[136:137]
	;; [unrolled: 1-line block ×9, first 2 shown]
	v_add_f64 v[44:45], v[0:1], v[140:141]
	v_add_f64 v[20:21], v[80:81], v[142:143]
	v_add_f64 v[22:23], v[82:83], v[146:147]
	v_add_f64 v[0:1], v[80:81], -v[142:143]
	s_barrier
	ds_write_b128 v250, v[32:35]
	ds_write_b128 v250, v[126:129] offset:16
	ds_write_b128 v250, v[130:133] offset:32
	ds_write_b128 v250, v[40:43] offset:48
	ds_write_b128 v250, v[36:39] offset:64
	ds_write_b128 v250, v[28:31] offset:80
	ds_write_b128 v250, v[64:67] offset:96
	ds_write_b128 v250, v[60:63] offset:112
	ds_write_b128 v250, v[24:27] offset:128
	ds_write_b128 v250, v[76:79] offset:144
	ds_write_b128 v189, v[96:99]
	ds_write_b128 v189, v[92:95] offset:16
	ds_write_b128 v189, v[88:91] offset:32
	ds_write_b128 v189, v[104:107] offset:48
	ds_write_b128 v189, v[100:103] offset:64
	ds_write_b128 v189, v[112:115] offset:80
	ds_write_b128 v189, v[108:111] offset:96
	ds_write_b128 v189, v[84:87] offset:112
	ds_write_b128 v189, v[116:119] offset:128
	ds_write_b128 v189, v[72:75] offset:144
	;; [unrolled: 10-line block ×3, first 2 shown]
	s_waitcnt lgkmcnt(0)
	s_barrier
	ds_read_b128 v[8:11], v187
	ds_read_b128 v[116:119], v187 offset:12960
	ds_read_b128 v[112:115], v187 offset:25920
	;; [unrolled: 1-line block ×29, first 2 shown]
	buffer_load_dword v2, off, s[36:39], 0 offset:636 ; 4-byte Folded Reload
	buffer_load_dword v3, off, s[36:39], 0 offset:640 ; 4-byte Folded Reload
	;; [unrolled: 1-line block ×4, first 2 shown]
	s_waitcnt vmcnt(0) lgkmcnt(14)
	v_mul_f64 v[138:139], v[4:5], v[118:119]
	v_mul_f64 v[0:1], v[4:5], v[116:117]
	buffer_load_dword v4, off, s[36:39], 0 offset:620 ; 4-byte Folded Reload
	buffer_load_dword v5, off, s[36:39], 0 offset:624 ; 4-byte Folded Reload
	;; [unrolled: 1-line block ×4, first 2 shown]
	v_fmac_f64_e32 v[138:139], v[2:3], v[116:117]
	v_fma_f64 v[66:67], v[2:3], v[118:119], -v[0:1]
	s_waitcnt vmcnt(0)
	v_mul_f64 v[0:1], v[6:7], v[114:115]
	v_mul_f64 v[2:3], v[6:7], v[112:113]
	v_fmac_f64_e32 v[0:1], v[4:5], v[112:113]
	v_fma_f64 v[136:137], v[4:5], v[114:115], -v[2:3]
	buffer_load_dword v4, off, s[36:39], 0 offset:604 ; 4-byte Folded Reload
	buffer_load_dword v5, off, s[36:39], 0 offset:608 ; 4-byte Folded Reload
	buffer_load_dword v6, off, s[36:39], 0 offset:612 ; 4-byte Folded Reload
	buffer_load_dword v7, off, s[36:39], 0 offset:616 ; 4-byte Folded Reload
	s_waitcnt vmcnt(0)
	v_mul_f64 v[44:45], v[6:7], v[110:111]
	v_mul_f64 v[2:3], v[6:7], v[108:109]
	v_fmac_f64_e32 v[44:45], v[4:5], v[108:109]
	v_fma_f64 v[112:113], v[4:5], v[110:111], -v[2:3]
	buffer_load_dword v4, off, s[36:39], 0 offset:556 ; 4-byte Folded Reload
	buffer_load_dword v5, off, s[36:39], 0 offset:560 ; 4-byte Folded Reload
	;; [unrolled: 1-line block ×8, first 2 shown]
	s_waitcnt vmcnt(4)
	v_mul_f64 v[2:3], v[6:7], v[104:105]
	v_mul_f64 v[46:47], v[6:7], v[106:107]
	v_fma_f64 v[6:7], v[4:5], v[106:107], -v[2:3]
	s_waitcnt vmcnt(0)
	v_mul_f64 v[12:13], v[22:23], v[102:103]
	v_mul_f64 v[2:3], v[22:23], v[100:101]
	v_fmac_f64_e32 v[46:47], v[4:5], v[104:105]
	v_fmac_f64_e32 v[12:13], v[20:21], v[100:101]
	v_fma_f64 v[104:105], v[20:21], v[102:103], -v[2:3]
	buffer_load_dword v20, off, s[36:39], 0 offset:688 ; 4-byte Folded Reload
	buffer_load_dword v21, off, s[36:39], 0 offset:692 ; 4-byte Folded Reload
	;; [unrolled: 1-line block ×4, first 2 shown]
	s_waitcnt vmcnt(0)
	v_mul_f64 v[4:5], v[22:23], v[98:99]
	v_mul_f64 v[2:3], v[22:23], v[96:97]
	v_fmac_f64_e32 v[4:5], v[20:21], v[96:97]
	v_fma_f64 v[106:107], v[20:21], v[98:99], -v[2:3]
	buffer_load_dword v20, off, s[36:39], 0 offset:672 ; 4-byte Folded Reload
	buffer_load_dword v21, off, s[36:39], 0 offset:676 ; 4-byte Folded Reload
	;; [unrolled: 1-line block ×8, first 2 shown]
	s_waitcnt vmcnt(4)
	v_mul_f64 v[64:65], v[22:23], v[94:95]
	v_mul_f64 v[2:3], v[22:23], v[92:93]
	v_fmac_f64_e32 v[64:65], v[20:21], v[92:93]
	v_fma_f64 v[14:15], v[20:21], v[94:95], -v[2:3]
	s_waitcnt vmcnt(0)
	v_mul_f64 v[2:3], v[30:31], v[90:91]
	v_mul_f64 v[20:21], v[30:31], v[88:89]
	v_fmac_f64_e32 v[2:3], v[28:29], v[88:89]
	v_fma_f64 v[102:103], v[28:29], v[90:91], -v[20:21]
	buffer_load_dword v28, off, s[36:39], 0 offset:768 ; 4-byte Folded Reload
	buffer_load_dword v29, off, s[36:39], 0 offset:772 ; 4-byte Folded Reload
	buffer_load_dword v30, off, s[36:39], 0 offset:776 ; 4-byte Folded Reload
	buffer_load_dword v31, off, s[36:39], 0 offset:780 ; 4-byte Folded Reload
	s_waitcnt vmcnt(0)
	v_mul_f64 v[20:21], v[30:31], v[86:87]
	v_mul_f64 v[22:23], v[30:31], v[84:85]
	v_fmac_f64_e32 v[20:21], v[28:29], v[84:85]
	v_fma_f64 v[108:109], v[28:29], v[86:87], -v[22:23]
	buffer_load_dword v84, off, s[36:39], 0 offset:752 ; 4-byte Folded Reload
	buffer_load_dword v85, off, s[36:39], 0 offset:756 ; 4-byte Folded Reload
	buffer_load_dword v86, off, s[36:39], 0 offset:760 ; 4-byte Folded Reload
	buffer_load_dword v87, off, s[36:39], 0 offset:764 ; 4-byte Folded Reload
	;; [unrolled: 9-line block ×4, first 2 shown]
	s_waitcnt vmcnt(0)
	v_mul_f64 v[82:83], v[78:79], v[74:75]
	v_fmac_f64_e32 v[82:83], v[76:77], v[72:73]
	v_mul_f64 v[72:73], v[78:79], v[72:73]
	v_fma_f64 v[72:73], v[76:77], v[74:75], -v[72:73]
	buffer_load_dword v76, off, s[36:39], 0 offset:784 ; 4-byte Folded Reload
	buffer_load_dword v77, off, s[36:39], 0 offset:788 ; 4-byte Folded Reload
	;; [unrolled: 1-line block ×4, first 2 shown]
	s_waitcnt vmcnt(0) lgkmcnt(13)
	v_mul_f64 v[74:75], v[78:79], v[70:71]
	v_fmac_f64_e32 v[74:75], v[76:77], v[68:69]
	v_mul_f64 v[68:69], v[78:79], v[68:69]
	buffer_load_dword v78, off, s[36:39], 0 offset:800 ; 4-byte Folded Reload
	buffer_load_dword v79, off, s[36:39], 0 offset:804 ; 4-byte Folded Reload
	;; [unrolled: 1-line block ×4, first 2 shown]
	v_fma_f64 v[76:77], v[76:77], v[70:71], -v[68:69]
	s_waitcnt vmcnt(0) lgkmcnt(12)
	v_mul_f64 v[68:69], v[80:81], v[252:253]
	v_fma_f64 v[84:85], v[78:79], v[254:255], -v[68:69]
	buffer_load_dword v68, off, s[36:39], 0 offset:816 ; 4-byte Folded Reload
	buffer_load_dword v69, off, s[36:39], 0 offset:820 ; 4-byte Folded Reload
	;; [unrolled: 1-line block ×4, first 2 shown]
	v_mul_f64 v[114:115], v[80:81], v[254:255]
	v_fmac_f64_e32 v[114:115], v[78:79], v[252:253]
	s_waitcnt vmcnt(0) lgkmcnt(11)
	v_mul_f64 v[254:255], v[70:71], v[62:63]
	v_fmac_f64_e32 v[254:255], v[68:69], v[60:61]
	v_mul_f64 v[60:61], v[70:71], v[60:61]
	v_fma_f64 v[98:99], v[68:69], v[62:63], -v[60:61]
	buffer_load_dword v60, off, s[36:39], 0 offset:832 ; 4-byte Folded Reload
	buffer_load_dword v61, off, s[36:39], 0 offset:836 ; 4-byte Folded Reload
	;; [unrolled: 1-line block ×4, first 2 shown]
	s_waitcnt vmcnt(0) lgkmcnt(10)
	v_mul_f64 v[70:71], v[62:63], v[58:59]
	v_fmac_f64_e32 v[70:71], v[60:61], v[56:57]
	v_mul_f64 v[56:57], v[62:63], v[56:57]
	v_fma_f64 v[100:101], v[60:61], v[58:59], -v[56:57]
	buffer_load_dword v56, off, s[36:39], 0 offset:848 ; 4-byte Folded Reload
	buffer_load_dword v57, off, s[36:39], 0 offset:852 ; 4-byte Folded Reload
	;; [unrolled: 1-line block ×4, first 2 shown]
	s_waitcnt lgkmcnt(0)
	s_barrier
	s_waitcnt vmcnt(0)
	v_mul_f64 v[78:79], v[58:59], v[54:55]
	v_fmac_f64_e32 v[78:79], v[56:57], v[52:53]
	v_mul_f64 v[52:53], v[58:59], v[52:53]
	v_fma_f64 v[88:89], v[56:57], v[54:55], -v[52:53]
	v_accvgpr_read_b32 v52, a192
	v_accvgpr_read_b32 v54, a194
	;; [unrolled: 1-line block ×4, first 2 shown]
	v_mul_f64 v[86:87], v[54:55], v[50:51]
	v_fmac_f64_e32 v[86:87], v[52:53], v[48:49]
	v_mul_f64 v[48:49], v[54:55], v[48:49]
	v_fma_f64 v[92:93], v[52:53], v[50:51], -v[48:49]
	v_accvgpr_read_b32 v48, a196
	v_accvgpr_read_b32 v50, a198
	v_accvgpr_read_b32 v51, a199
	v_accvgpr_read_b32 v49, a197
	v_mul_f64 v[116:117], v[50:51], v[38:39]
	v_fmac_f64_e32 v[116:117], v[48:49], v[36:37]
	v_mul_f64 v[36:37], v[50:51], v[36:37]
	v_fma_f64 v[36:37], v[48:49], v[38:39], -v[36:37]
	v_accvgpr_read_b32 v48, a200
	v_accvgpr_read_b32 v50, a202
	;; [unrolled: 1-line block ×3, first 2 shown]
	v_mul_f64 v[118:119], v[50:51], v[126:127]
	v_mul_f64 v[38:39], v[50:51], v[124:125]
	v_accvgpr_read_b32 v50, a204
	v_accvgpr_read_b32 v49, a201
	v_accvgpr_read_b32 v52, a206
	v_accvgpr_read_b32 v53, a207
	v_fmac_f64_e32 v[118:119], v[48:49], v[124:125]
	v_fma_f64 v[38:39], v[48:49], v[126:127], -v[38:39]
	v_accvgpr_read_b32 v51, a205
	v_mul_f64 v[90:91], v[52:53], v[122:123]
	v_mul_f64 v[48:49], v[52:53], v[120:121]
	v_fmac_f64_e32 v[90:91], v[50:51], v[120:121]
	v_fma_f64 v[96:97], v[50:51], v[122:123], -v[48:49]
	v_accvgpr_read_b32 v50, a208
	v_accvgpr_read_b32 v52, a210
	v_accvgpr_read_b32 v53, a211
	v_accvgpr_read_b32 v51, a209
	v_mul_f64 v[94:95], v[52:53], v[130:131]
	v_mul_f64 v[48:49], v[52:53], v[128:129]
	v_fmac_f64_e32 v[94:95], v[50:51], v[128:129]
	v_fma_f64 v[252:253], v[50:51], v[130:131], -v[48:49]
	v_accvgpr_read_b32 v48, a212
	v_accvgpr_read_b32 v50, a214
	v_accvgpr_read_b32 v51, a215
	v_accvgpr_read_b32 v49, a213
	v_mul_f64 v[128:129], v[50:51], v[34:35]
	v_fmac_f64_e32 v[128:129], v[48:49], v[32:33]
	v_mul_f64 v[32:33], v[50:51], v[32:33]
	v_fma_f64 v[32:33], v[48:49], v[34:35], -v[32:33]
	v_accvgpr_read_b32 v48, a216
	v_accvgpr_read_b32 v50, a218
	;; [unrolled: 1-line block ×4, first 2 shown]
	v_mul_f64 v[130:131], v[50:51], v[146:147]
	v_mul_f64 v[34:35], v[50:51], v[144:145]
	v_fmac_f64_e32 v[130:131], v[48:49], v[144:145]
	v_fma_f64 v[34:35], v[48:49], v[146:147], -v[34:35]
	v_add_f64 v[48:49], v[8:9], v[138:139]
	v_add_f64 v[48:49], v[48:49], v[0:1]
	;; [unrolled: 1-line block ×5, first 2 shown]
	v_fma_f64 v[120:121], -0.5, v[48:49], v[8:9]
	v_add_f64 v[50:51], v[66:67], -v[6:7]
	v_fma_f64 v[48:49], s[16:17], v[50:51], v[120:121]
	v_add_f64 v[52:53], v[136:137], -v[112:113]
	v_add_f64 v[54:55], v[138:139], -v[0:1]
	;; [unrolled: 1-line block ×3, first 2 shown]
	v_fmac_f64_e32 v[120:121], s[6:7], v[50:51]
	v_fmac_f64_e32 v[48:49], s[18:19], v[52:53]
	v_add_f64 v[54:55], v[54:55], v[56:57]
	v_fmac_f64_e32 v[120:121], s[8:9], v[52:53]
	v_fmac_f64_e32 v[48:49], s[14:15], v[54:55]
	;; [unrolled: 1-line block ×3, first 2 shown]
	v_add_f64 v[54:55], v[138:139], v[46:47]
	v_fmac_f64_e32 v[8:9], -0.5, v[54:55]
	v_fma_f64 v[56:57], s[6:7], v[52:53], v[8:9]
	v_fmac_f64_e32 v[8:9], s[16:17], v[52:53]
	v_fmac_f64_e32 v[56:57], s[18:19], v[50:51]
	;; [unrolled: 1-line block ×3, first 2 shown]
	v_add_f64 v[50:51], v[10:11], v[66:67]
	v_add_f64 v[50:51], v[50:51], v[136:137]
	;; [unrolled: 1-line block ×5, first 2 shown]
	v_add_f64 v[58:59], v[44:45], -v[46:47]
	v_fma_f64 v[122:123], -0.5, v[50:51], v[10:11]
	v_add_f64 v[46:47], v[138:139], -v[46:47]
	v_add_f64 v[54:55], v[0:1], -v[138:139]
	v_fma_f64 v[50:51], s[6:7], v[46:47], v[122:123]
	v_add_f64 v[0:1], v[0:1], -v[44:45]
	v_add_f64 v[44:45], v[66:67], -v[136:137]
	;; [unrolled: 1-line block ×3, first 2 shown]
	v_fmac_f64_e32 v[122:123], s[16:17], v[46:47]
	v_fmac_f64_e32 v[50:51], s[8:9], v[0:1]
	v_add_f64 v[44:45], v[44:45], v[52:53]
	v_fmac_f64_e32 v[122:123], s[18:19], v[0:1]
	v_fmac_f64_e32 v[50:51], s[14:15], v[44:45]
	;; [unrolled: 1-line block ×3, first 2 shown]
	v_add_f64 v[44:45], v[66:67], v[6:7]
	v_fmac_f64_e32 v[10:11], -0.5, v[44:45]
	v_add_f64 v[54:55], v[54:55], v[58:59]
	v_fma_f64 v[58:59], s[16:17], v[0:1], v[10:11]
	v_fmac_f64_e32 v[10:11], s[6:7], v[0:1]
	v_add_f64 v[0:1], v[16:17], v[12:13]
	v_add_f64 v[0:1], v[0:1], v[4:5]
	;; [unrolled: 1-line block ×3, first 2 shown]
	v_add_f64 v[44:45], v[136:137], -v[66:67]
	v_add_f64 v[6:7], v[112:113], -v[6:7]
	v_add_f64 v[136:137], v[0:1], v[2:3]
	v_add_f64 v[0:1], v[4:5], v[64:65]
	v_fmac_f64_e32 v[58:59], s[8:9], v[46:47]
	v_add_f64 v[6:7], v[44:45], v[6:7]
	v_fmac_f64_e32 v[10:11], s[18:19], v[46:47]
	v_fma_f64 v[124:125], -0.5, v[0:1], v[16:17]
	v_add_f64 v[0:1], v[104:105], -v[102:103]
	v_fmac_f64_e32 v[58:59], s[14:15], v[6:7]
	v_fmac_f64_e32 v[10:11], s[14:15], v[6:7]
	v_fma_f64 v[52:53], s[16:17], v[0:1], v[124:125]
	v_add_f64 v[6:7], v[106:107], -v[14:15]
	v_add_f64 v[44:45], v[12:13], -v[4:5]
	;; [unrolled: 1-line block ×3, first 2 shown]
	v_fmac_f64_e32 v[124:125], s[6:7], v[0:1]
	v_fmac_f64_e32 v[52:53], s[18:19], v[6:7]
	v_add_f64 v[44:45], v[44:45], v[46:47]
	v_fmac_f64_e32 v[124:125], s[8:9], v[6:7]
	v_fmac_f64_e32 v[52:53], s[14:15], v[44:45]
	;; [unrolled: 1-line block ×3, first 2 shown]
	v_add_f64 v[44:45], v[12:13], v[2:3]
	v_fmac_f64_e32 v[16:17], -0.5, v[44:45]
	v_fma_f64 v[60:61], s[6:7], v[6:7], v[16:17]
	v_fmac_f64_e32 v[16:17], s[16:17], v[6:7]
	v_fmac_f64_e32 v[60:61], s[18:19], v[0:1]
	;; [unrolled: 1-line block ×3, first 2 shown]
	v_add_f64 v[0:1], v[18:19], v[104:105]
	v_add_f64 v[0:1], v[0:1], v[106:107]
	;; [unrolled: 1-line block ×5, first 2 shown]
	v_fma_f64 v[126:127], -0.5, v[0:1], v[18:19]
	v_add_f64 v[0:1], v[12:13], -v[2:3]
	v_fmac_f64_e32 v[56:57], s[14:15], v[54:55]
	v_fmac_f64_e32 v[8:9], s[14:15], v[54:55]
	v_add_f64 v[44:45], v[4:5], -v[12:13]
	v_add_f64 v[46:47], v[64:65], -v[2:3]
	v_fma_f64 v[54:55], s[6:7], v[0:1], v[126:127]
	v_add_f64 v[2:3], v[4:5], -v[64:65]
	v_add_f64 v[4:5], v[104:105], -v[106:107]
	v_add_f64 v[6:7], v[102:103], -v[14:15]
	v_fmac_f64_e32 v[126:127], s[16:17], v[0:1]
	v_fmac_f64_e32 v[54:55], s[8:9], v[2:3]
	v_add_f64 v[4:5], v[4:5], v[6:7]
	v_fmac_f64_e32 v[126:127], s[18:19], v[2:3]
	v_fmac_f64_e32 v[54:55], s[14:15], v[4:5]
	v_fmac_f64_e32 v[126:127], s[14:15], v[4:5]
	v_add_f64 v[4:5], v[104:105], v[102:103]
	v_fmac_f64_e32 v[18:19], -0.5, v[4:5]
	v_fma_f64 v[62:63], s[16:17], v[2:3], v[18:19]
	v_fmac_f64_e32 v[18:19], s[6:7], v[2:3]
	v_fmac_f64_e32 v[62:63], s[8:9], v[0:1]
	v_fmac_f64_e32 v[18:19], s[18:19], v[0:1]
	v_add_f64 v[0:1], v[24:25], v[20:21]
	v_add_f64 v[0:1], v[0:1], v[28:29]
	v_add_f64 v[0:1], v[0:1], v[30:31]
	v_add_f64 v[4:5], v[106:107], -v[104:105]
	v_add_f64 v[6:7], v[14:15], -v[102:103]
	v_add_f64 v[104:105], v[0:1], v[82:83]
	v_add_f64 v[0:1], v[28:29], v[30:31]
	v_add_f64 v[4:5], v[4:5], v[6:7]
	v_fma_f64 v[12:13], -0.5, v[0:1], v[24:25]
	v_add_f64 v[0:1], v[108:109], -v[72:73]
	v_fmac_f64_e32 v[62:63], s[14:15], v[4:5]
	v_fmac_f64_e32 v[18:19], s[14:15], v[4:5]
	v_fma_f64 v[80:81], s[16:17], v[0:1], v[12:13]
	v_add_f64 v[2:3], v[110:111], -v[22:23]
	v_add_f64 v[4:5], v[20:21], -v[28:29]
	v_add_f64 v[6:7], v[82:83], -v[30:31]
	v_fmac_f64_e32 v[12:13], s[6:7], v[0:1]
	v_fmac_f64_e32 v[80:81], s[18:19], v[2:3]
	v_add_f64 v[4:5], v[4:5], v[6:7]
	v_fmac_f64_e32 v[12:13], s[8:9], v[2:3]
	v_fmac_f64_e32 v[80:81], s[14:15], v[4:5]
	v_fmac_f64_e32 v[12:13], s[14:15], v[4:5]
	v_add_f64 v[4:5], v[20:21], v[82:83]
	v_fmac_f64_e32 v[24:25], -0.5, v[4:5]
	v_fma_f64 v[64:65], s[6:7], v[2:3], v[24:25]
	v_fmac_f64_e32 v[24:25], s[16:17], v[2:3]
	v_fmac_f64_e32 v[64:65], s[18:19], v[0:1]
	v_fmac_f64_e32 v[24:25], s[8:9], v[0:1]
	v_add_f64 v[0:1], v[26:27], v[108:109]
	v_add_f64 v[0:1], v[0:1], v[110:111]
	v_add_f64 v[0:1], v[0:1], v[22:23]
	v_add_f64 v[4:5], v[28:29], -v[20:21]
	v_add_f64 v[6:7], v[30:31], -v[82:83]
	v_add_f64 v[106:107], v[0:1], v[72:73]
	v_add_f64 v[0:1], v[110:111], v[22:23]
	v_add_f64 v[4:5], v[4:5], v[6:7]
	v_fma_f64 v[14:15], -0.5, v[0:1], v[26:27]
	v_add_f64 v[0:1], v[20:21], -v[82:83]
	v_fmac_f64_e32 v[64:65], s[14:15], v[4:5]
	v_fmac_f64_e32 v[24:25], s[14:15], v[4:5]
	;; [unrolled: 28-line block ×8, first 2 shown]
	v_fma_f64 v[90:91], s[6:7], v[0:1], v[38:39]
	v_add_f64 v[2:3], v[94:95], -v[128:129]
	v_add_f64 v[4:5], v[96:97], -v[252:253]
	;; [unrolled: 1-line block ×3, first 2 shown]
	v_fmac_f64_e32 v[38:39], s[16:17], v[0:1]
	v_fmac_f64_e32 v[90:91], s[8:9], v[2:3]
	v_add_f64 v[4:5], v[4:5], v[6:7]
	v_fmac_f64_e32 v[38:39], s[18:19], v[2:3]
	v_fmac_f64_e32 v[90:91], s[14:15], v[4:5]
	;; [unrolled: 1-line block ×3, first 2 shown]
	v_add_f64 v[4:5], v[96:97], v[34:35]
	v_fmac_f64_e32 v[142:143], -0.5, v[4:5]
	v_fma_f64 v[94:95], s[16:17], v[2:3], v[142:143]
	v_fmac_f64_e32 v[142:143], s[6:7], v[2:3]
	v_fmac_f64_e32 v[94:95], s[8:9], v[0:1]
	;; [unrolled: 1-line block ×3, first 2 shown]
	buffer_load_dword v0, off, s[36:39], 0 offset:4 ; 4-byte Folded Reload
	s_waitcnt vmcnt(0)
	ds_write_b128 v0, v[144:147]
	ds_write_b128 v0, v[48:51] offset:160
	ds_write_b128 v0, v[56:59] offset:320
	;; [unrolled: 1-line block ×4, first 2 shown]
	buffer_load_dword v0, off, s[36:39], 0 offset:188 ; 4-byte Folded Reload
	v_add_f64 v[44:45], v[44:45], v[46:47]
	v_fmac_f64_e32 v[60:61], s[14:15], v[44:45]
	v_fmac_f64_e32 v[16:17], s[14:15], v[44:45]
	s_waitcnt vmcnt(0)
	ds_write_b128 v0, v[136:139]
	ds_write_b128 v0, v[52:55] offset:160
	ds_write_b128 v0, v[60:63] offset:320
	ds_write_b128 v0, v[16:19] offset:480
	ds_write_b128 v0, v[124:127] offset:640
	buffer_load_dword v0, off, s[36:39], 0 offset:192 ; 4-byte Folded Reload
	s_waitcnt vmcnt(0)
	ds_write_b128 v0, v[104:107]
	ds_write_b128 v0, v[80:83] offset:160
	ds_write_b128 v0, v[64:67] offset:320
	ds_write_b128 v0, v[24:27] offset:480
	ds_write_b128 v0, v[12:15] offset:640
	buffer_load_dword v0, off, s[36:39], 0 offset:8 ; 4-byte Folded Reload
	;; [unrolled: 7-line block ×4, first 2 shown]
	v_add_f64 v[4:5], v[252:253], -v[96:97]
	v_add_f64 v[6:7], v[32:33], -v[34:35]
	v_add_f64 v[4:5], v[4:5], v[6:7]
	v_accvgpr_read_b32 v122, a224
	v_fmac_f64_e32 v[94:95], s[14:15], v[4:5]
	v_accvgpr_read_b32 v124, a226
	v_accvgpr_read_b32 v125, a227
	v_fmac_f64_e32 v[142:143], s[14:15], v[4:5]
	s_waitcnt vmcnt(0)
	ds_write_b128 v0, v[116:119]
	ds_write_b128 v0, v[88:91] offset:160
	ds_write_b128 v0, v[92:95] offset:320
	;; [unrolled: 1-line block ×4, first 2 shown]
	s_waitcnt lgkmcnt(0)
	s_barrier
	ds_read_b128 v[36:39], v187
	ds_read_b128 v[116:119], v187 offset:21600
	ds_read_b128 v[112:115], v187 offset:43200
	;; [unrolled: 1-line block ×29, first 2 shown]
	v_accvgpr_read_b32 v123, a225
	s_waitcnt lgkmcnt(14)
	v_mul_f64 v[120:121], v[124:125], v[118:119]
	v_fmac_f64_e32 v[120:121], v[122:123], v[116:117]
	v_mul_f64 v[116:117], v[124:125], v[116:117]
	v_fma_f64 v[122:123], v[122:123], v[118:119], -v[116:117]
	v_accvgpr_read_b32 v116, a228
	v_accvgpr_read_b32 v118, a230
	v_accvgpr_read_b32 v119, a231
	v_accvgpr_read_b32 v117, a229
	v_mul_f64 v[124:125], v[118:119], v[114:115]
	v_fmac_f64_e32 v[124:125], v[116:117], v[112:113]
	v_mul_f64 v[112:113], v[118:119], v[112:113]
	v_fma_f64 v[112:113], v[116:117], v[114:115], -v[112:113]
	v_accvgpr_read_b32 v114, a232
	v_accvgpr_read_b32 v116, a234
	v_accvgpr_read_b32 v117, a235
	v_accvgpr_read_b32 v115, a233
	;; [unrolled: 8-line block ×10, first 2 shown]
	s_waitcnt lgkmcnt(13)
	v_mul_f64 v[188:189], v[86:87], v[78:79]
	v_fmac_f64_e32 v[188:189], v[84:85], v[76:77]
	v_mul_f64 v[76:77], v[86:87], v[76:77]
	v_fma_f64 v[250:251], v[84:85], v[78:79], -v[76:77]
	v_accvgpr_read_b32 v76, a180
	v_accvgpr_read_b32 v78, a182
	v_accvgpr_read_b32 v79, a183
	v_accvgpr_read_b32 v77, a181
	s_waitcnt lgkmcnt(12)
	v_mul_f64 v[252:253], v[78:79], v[74:75]
	v_fmac_f64_e32 v[252:253], v[76:77], v[72:73]
	v_mul_f64 v[72:73], v[78:79], v[72:73]
	v_fma_f64 v[74:75], v[76:77], v[74:75], -v[72:73]
	v_accvgpr_read_b32 v76, a176
	v_accvgpr_read_b32 v78, a178
	v_accvgpr_read_b32 v79, a179
	v_accvgpr_read_b32 v77, a177
	;; [unrolled: 9-line block ×9, first 2 shown]
	s_waitcnt lgkmcnt(0)
	v_mul_f64 v[46:47], v[78:79], v[42:43]
	v_fmac_f64_e32 v[46:47], v[76:77], v[40:41]
	v_mul_f64 v[40:41], v[78:79], v[40:41]
	v_fma_f64 v[42:43], v[76:77], v[42:43], -v[40:41]
	v_add_f64 v[40:41], v[36:37], v[120:121]
	v_add_f64 v[116:117], v[40:41], v[124:125]
	v_add_f64 v[40:41], v[120:121], v[124:125]
	v_fmac_f64_e32 v[36:37], -0.5, v[40:41]
	v_add_f64 v[40:41], v[122:123], -v[112:113]
	v_fma_f64 v[108:109], s[4:5], v[40:41], v[36:37]
	v_fmac_f64_e32 v[36:37], s[2:3], v[40:41]
	v_add_f64 v[40:41], v[38:39], v[122:123]
	v_add_f64 v[118:119], v[40:41], v[112:113]
	v_add_f64 v[40:41], v[122:123], v[112:113]
	v_fmac_f64_e32 v[38:39], -0.5, v[40:41]
	v_add_f64 v[40:41], v[120:121], -v[124:125]
	v_fma_f64 v[110:111], s[2:3], v[40:41], v[38:39]
	v_fmac_f64_e32 v[38:39], s[4:5], v[40:41]
	v_add_f64 v[40:41], v[32:33], v[126:127]
	v_add_f64 v[112:113], v[40:41], v[130:131]
	v_add_f64 v[40:41], v[126:127], v[130:131]
	v_fmac_f64_e32 v[32:33], -0.5, v[40:41]
	v_add_f64 v[40:41], v[128:129], -v[106:107]
	v_fma_f64 v[104:105], s[4:5], v[40:41], v[32:33]
	v_fmac_f64_e32 v[32:33], s[2:3], v[40:41]
	v_add_f64 v[40:41], v[34:35], v[128:129]
	v_add_f64 v[114:115], v[40:41], v[106:107]
	v_add_f64 v[40:41], v[128:129], v[106:107]
	v_fmac_f64_e32 v[34:35], -0.5, v[40:41]
	v_add_f64 v[40:41], v[126:127], -v[130:131]
	v_fma_f64 v[106:107], s[2:3], v[40:41], v[34:35]
	v_fmac_f64_e32 v[34:35], s[4:5], v[40:41]
	v_add_f64 v[40:41], v[28:29], v[132:133]
	v_add_f64 v[100:101], v[40:41], v[136:137]
	v_add_f64 v[40:41], v[132:133], v[136:137]
	v_fmac_f64_e32 v[28:29], -0.5, v[40:41]
	v_add_f64 v[40:41], v[134:135], -v[98:99]
	v_fma_f64 v[96:97], s[4:5], v[40:41], v[28:29]
	v_fmac_f64_e32 v[28:29], s[2:3], v[40:41]
	v_add_f64 v[40:41], v[30:31], v[134:135]
	v_add_f64 v[102:103], v[40:41], v[98:99]
	v_add_f64 v[40:41], v[134:135], v[98:99]
	v_fmac_f64_e32 v[30:31], -0.5, v[40:41]
	v_add_f64 v[40:41], v[132:133], -v[136:137]
	v_fma_f64 v[98:99], s[2:3], v[40:41], v[30:31]
	v_fmac_f64_e32 v[30:31], s[4:5], v[40:41]
	v_add_f64 v[40:41], v[24:25], v[138:139]
	v_add_f64 v[92:93], v[40:41], v[142:143]
	v_add_f64 v[40:41], v[138:139], v[142:143]
	v_fmac_f64_e32 v[24:25], -0.5, v[40:41]
	v_add_f64 v[40:41], v[140:141], -v[90:91]
	v_fma_f64 v[88:89], s[4:5], v[40:41], v[24:25]
	v_fmac_f64_e32 v[24:25], s[2:3], v[40:41]
	v_add_f64 v[40:41], v[26:27], v[140:141]
	v_add_f64 v[94:95], v[40:41], v[90:91]
	v_add_f64 v[40:41], v[140:141], v[90:91]
	v_fmac_f64_e32 v[26:27], -0.5, v[40:41]
	v_add_f64 v[40:41], v[138:139], -v[142:143]
	v_fma_f64 v[90:91], s[2:3], v[40:41], v[26:27]
	v_fmac_f64_e32 v[26:27], s[4:5], v[40:41]
	v_add_f64 v[40:41], v[20:21], v[144:145]
	v_add_f64 v[84:85], v[40:41], v[184:185]
	v_add_f64 v[40:41], v[144:145], v[184:185]
	v_fmac_f64_e32 v[20:21], -0.5, v[40:41]
	v_add_f64 v[40:41], v[146:147], -v[82:83]
	v_fma_f64 v[80:81], s[4:5], v[40:41], v[20:21]
	v_fmac_f64_e32 v[20:21], s[2:3], v[40:41]
	v_add_f64 v[40:41], v[22:23], v[146:147]
	v_add_f64 v[86:87], v[40:41], v[82:83]
	v_add_f64 v[40:41], v[146:147], v[82:83]
	v_fmac_f64_e32 v[22:23], -0.5, v[40:41]
	v_add_f64 v[40:41], v[144:145], -v[184:185]
	v_fma_f64 v[82:83], s[2:3], v[40:41], v[22:23]
	v_fmac_f64_e32 v[22:23], s[4:5], v[40:41]
	v_add_f64 v[40:41], v[16:17], v[188:189]
	v_add_f64 v[76:77], v[40:41], v[252:253]
	v_add_f64 v[40:41], v[188:189], v[252:253]
	v_fmac_f64_e32 v[16:17], -0.5, v[40:41]
	v_add_f64 v[40:41], v[250:251], -v[74:75]
	v_fma_f64 v[72:73], s[4:5], v[40:41], v[16:17]
	v_fmac_f64_e32 v[16:17], s[2:3], v[40:41]
	v_add_f64 v[40:41], v[18:19], v[250:251]
	v_add_f64 v[78:79], v[40:41], v[74:75]
	v_add_f64 v[40:41], v[250:251], v[74:75]
	v_fmac_f64_e32 v[18:19], -0.5, v[40:41]
	v_add_f64 v[40:41], v[188:189], -v[252:253]
	v_fma_f64 v[74:75], s[2:3], v[40:41], v[18:19]
	v_fmac_f64_e32 v[18:19], s[4:5], v[40:41]
	v_add_f64 v[40:41], v[12:13], v[254:255]
	v_add_f64 v[120:121], v[40:41], v[70:71]
	v_add_f64 v[40:41], v[254:255], v[70:71]
	v_fmac_f64_e32 v[12:13], -0.5, v[40:41]
	v_add_f64 v[40:41], v[68:69], -v[66:67]
	v_fma_f64 v[124:125], s[4:5], v[40:41], v[12:13]
	v_fmac_f64_e32 v[12:13], s[2:3], v[40:41]
	v_add_f64 v[40:41], v[14:15], v[68:69]
	v_add_f64 v[122:123], v[40:41], v[66:67]
	v_add_f64 v[40:41], v[68:69], v[66:67]
	v_fmac_f64_e32 v[14:15], -0.5, v[40:41]
	v_add_f64 v[40:41], v[254:255], -v[70:71]
	v_fma_f64 v[126:127], s[2:3], v[40:41], v[14:15]
	v_fmac_f64_e32 v[14:15], s[4:5], v[40:41]
	v_add_f64 v[40:41], v[8:9], v[64:65]
	v_add_f64 v[66:67], v[40:41], v[62:63]
	v_add_f64 v[40:41], v[64:65], v[62:63]
	v_fmac_f64_e32 v[8:9], -0.5, v[40:41]
	v_add_f64 v[40:41], v[60:61], -v[58:59]
	v_fma_f64 v[128:129], s[4:5], v[40:41], v[8:9]
	v_fmac_f64_e32 v[8:9], s[2:3], v[40:41]
	v_add_f64 v[40:41], v[10:11], v[60:61]
	v_add_f64 v[68:69], v[40:41], v[58:59]
	v_add_f64 v[40:41], v[60:61], v[58:59]
	v_fmac_f64_e32 v[10:11], -0.5, v[40:41]
	v_add_f64 v[40:41], v[64:65], -v[62:63]
	v_fma_f64 v[130:131], s[2:3], v[40:41], v[10:11]
	v_fmac_f64_e32 v[10:11], s[4:5], v[40:41]
	v_add_f64 v[40:41], v[4:5], v[56:57]
	v_add_f64 v[58:59], v[40:41], v[54:55]
	v_add_f64 v[40:41], v[56:57], v[54:55]
	v_fmac_f64_e32 v[4:5], -0.5, v[40:41]
	v_add_f64 v[40:41], v[52:53], -v[50:51]
	v_fma_f64 v[62:63], s[4:5], v[40:41], v[4:5]
	v_fmac_f64_e32 v[4:5], s[2:3], v[40:41]
	v_add_f64 v[40:41], v[6:7], v[52:53]
	v_add_f64 v[60:61], v[40:41], v[50:51]
	v_add_f64 v[40:41], v[52:53], v[50:51]
	v_fmac_f64_e32 v[6:7], -0.5, v[40:41]
	v_add_f64 v[40:41], v[56:57], -v[54:55]
	v_fma_f64 v[64:65], s[2:3], v[40:41], v[6:7]
	v_fmac_f64_e32 v[6:7], s[4:5], v[40:41]
	v_add_f64 v[40:41], v[0:1], v[48:49]
	v_add_f64 v[50:51], v[40:41], v[46:47]
	v_add_f64 v[40:41], v[48:49], v[46:47]
	v_fmac_f64_e32 v[0:1], -0.5, v[40:41]
	v_add_f64 v[52:53], v[44:45], -v[42:43]
	v_fma_f64 v[40:41], s[4:5], v[52:53], v[0:1]
	v_fmac_f64_e32 v[0:1], s[2:3], v[52:53]
	v_add_f64 v[52:53], v[2:3], v[44:45]
	v_add_f64 v[52:53], v[52:53], v[42:43]
	v_add_f64 v[42:43], v[44:45], v[42:43]
	v_fmac_f64_e32 v[2:3], -0.5, v[42:43]
	v_add_f64 v[44:45], v[48:49], -v[46:47]
	v_fma_f64 v[42:43], s[2:3], v[44:45], v[2:3]
	v_fmac_f64_e32 v[2:3], s[4:5], v[44:45]
	s_barrier
	buffer_load_dword v44, off, s[36:39], 0 offset:196 ; 4-byte Folded Reload
	s_waitcnt vmcnt(0)
	ds_write_b128 v44, v[116:119]
	ds_write_b128 v44, v[108:111] offset:800
	ds_write_b128 v44, v[36:39] offset:1600
	buffer_load_dword v36, off, s[36:39], 0 offset:200 ; 4-byte Folded Reload
	s_waitcnt vmcnt(0)
	ds_write_b128 v36, v[112:115]
	ds_write_b128 v36, v[104:107] offset:800
	ds_write_b128 v36, v[32:35] offset:1600
	;; [unrolled: 5-line block ×9, first 2 shown]
	buffer_load_dword v4, off, s[36:39], 0 offset:528 ; 4-byte Folded Reload
	v_accvgpr_read_b32 v122, a144
	v_accvgpr_read_b32 v124, a146
	;; [unrolled: 1-line block ×3, first 2 shown]
	s_waitcnt vmcnt(0)
	ds_write_b128 v4, v[50:53]
	ds_write_b128 v4, v[40:43] offset:800
	ds_write_b128 v4, v[0:3] offset:1600
	s_waitcnt lgkmcnt(0)
	s_barrier
	ds_read_b128 v[36:39], v187
	ds_read_b128 v[116:119], v187 offset:21600
	ds_read_b128 v[112:115], v187 offset:43200
	;; [unrolled: 1-line block ×29, first 2 shown]
	v_accvgpr_read_b32 v123, a145
	s_waitcnt lgkmcnt(14)
	v_mul_f64 v[120:121], v[124:125], v[118:119]
	v_fmac_f64_e32 v[120:121], v[122:123], v[116:117]
	v_mul_f64 v[116:117], v[124:125], v[116:117]
	v_fma_f64 v[122:123], v[122:123], v[118:119], -v[116:117]
	v_accvgpr_read_b32 v116, a140
	v_accvgpr_read_b32 v118, a142
	v_accvgpr_read_b32 v119, a143
	v_accvgpr_read_b32 v117, a141
	v_mul_f64 v[124:125], v[118:119], v[114:115]
	v_fmac_f64_e32 v[124:125], v[116:117], v[112:113]
	v_mul_f64 v[112:113], v[118:119], v[112:113]
	v_fma_f64 v[112:113], v[116:117], v[114:115], -v[112:113]
	v_accvgpr_read_b32 v114, a136
	v_accvgpr_read_b32 v116, a138
	v_accvgpr_read_b32 v117, a139
	v_accvgpr_read_b32 v115, a137
	;; [unrolled: 8-line block ×10, first 2 shown]
	s_waitcnt lgkmcnt(13)
	v_mul_f64 v[188:189], v[86:87], v[78:79]
	v_fmac_f64_e32 v[188:189], v[84:85], v[76:77]
	v_mul_f64 v[76:77], v[86:87], v[76:77]
	v_fma_f64 v[250:251], v[84:85], v[78:79], -v[76:77]
	v_accvgpr_read_b32 v76, a100
	v_accvgpr_read_b32 v78, a102
	v_accvgpr_read_b32 v79, a103
	v_accvgpr_read_b32 v77, a101
	s_waitcnt lgkmcnt(12)
	v_mul_f64 v[252:253], v[78:79], v[74:75]
	v_fmac_f64_e32 v[252:253], v[76:77], v[72:73]
	v_mul_f64 v[72:73], v[78:79], v[72:73]
	v_fma_f64 v[74:75], v[76:77], v[74:75], -v[72:73]
	v_accvgpr_read_b32 v76, a96
	v_accvgpr_read_b32 v78, a98
	v_accvgpr_read_b32 v79, a99
	v_accvgpr_read_b32 v77, a97
	;; [unrolled: 9-line block ×9, first 2 shown]
	s_waitcnt lgkmcnt(0)
	v_mul_f64 v[46:47], v[78:79], v[42:43]
	v_fmac_f64_e32 v[46:47], v[76:77], v[40:41]
	v_mul_f64 v[40:41], v[78:79], v[40:41]
	v_fma_f64 v[42:43], v[76:77], v[42:43], -v[40:41]
	v_add_f64 v[40:41], v[36:37], v[120:121]
	v_add_f64 v[116:117], v[40:41], v[124:125]
	;; [unrolled: 1-line block ×3, first 2 shown]
	v_fmac_f64_e32 v[36:37], -0.5, v[40:41]
	v_add_f64 v[40:41], v[122:123], -v[112:113]
	v_fma_f64 v[108:109], s[4:5], v[40:41], v[36:37]
	v_fmac_f64_e32 v[36:37], s[2:3], v[40:41]
	v_add_f64 v[40:41], v[38:39], v[122:123]
	v_add_f64 v[118:119], v[40:41], v[112:113]
	;; [unrolled: 1-line block ×3, first 2 shown]
	v_fmac_f64_e32 v[38:39], -0.5, v[40:41]
	v_add_f64 v[40:41], v[120:121], -v[124:125]
	v_fma_f64 v[110:111], s[2:3], v[40:41], v[38:39]
	v_fmac_f64_e32 v[38:39], s[4:5], v[40:41]
	s_barrier
	ds_write_b128 v187, v[116:119]
	ds_write_b128 v187, v[108:111] offset:2400
	ds_write_b128 v187, v[36:39] offset:4800
	buffer_load_dword v36, off, s[36:39], 0 offset:548 ; 4-byte Folded Reload
	v_add_f64 v[40:41], v[32:33], v[126:127]
	v_add_f64 v[112:113], v[40:41], v[130:131]
	v_add_f64 v[40:41], v[126:127], v[130:131]
	v_fmac_f64_e32 v[32:33], -0.5, v[40:41]
	v_add_f64 v[40:41], v[128:129], -v[106:107]
	v_fma_f64 v[104:105], s[4:5], v[40:41], v[32:33]
	v_fmac_f64_e32 v[32:33], s[2:3], v[40:41]
	v_add_f64 v[40:41], v[34:35], v[128:129]
	v_add_f64 v[114:115], v[40:41], v[106:107]
	v_add_f64 v[40:41], v[128:129], v[106:107]
	v_fmac_f64_e32 v[34:35], -0.5, v[40:41]
	v_add_f64 v[40:41], v[126:127], -v[130:131]
	v_fma_f64 v[106:107], s[2:3], v[40:41], v[34:35]
	v_fmac_f64_e32 v[34:35], s[4:5], v[40:41]
	s_waitcnt vmcnt(0)
	ds_write_b128 v36, v[112:115]
	ds_write_b128 v36, v[104:107] offset:2400
	ds_write_b128 v36, v[32:35] offset:4800
	buffer_load_dword v32, off, s[36:39], 0 offset:552 ; 4-byte Folded Reload
	v_add_f64 v[40:41], v[28:29], v[132:133]
	v_add_f64 v[100:101], v[40:41], v[136:137]
	v_add_f64 v[40:41], v[132:133], v[136:137]
	v_fmac_f64_e32 v[28:29], -0.5, v[40:41]
	v_add_f64 v[40:41], v[134:135], -v[98:99]
	v_fma_f64 v[96:97], s[4:5], v[40:41], v[28:29]
	v_fmac_f64_e32 v[28:29], s[2:3], v[40:41]
	v_add_f64 v[40:41], v[30:31], v[134:135]
	v_add_f64 v[102:103], v[40:41], v[98:99]
	v_add_f64 v[40:41], v[134:135], v[98:99]
	v_fmac_f64_e32 v[30:31], -0.5, v[40:41]
	v_add_f64 v[40:41], v[132:133], -v[136:137]
	v_fma_f64 v[98:99], s[2:3], v[40:41], v[30:31]
	v_fmac_f64_e32 v[30:31], s[4:5], v[40:41]
	s_waitcnt vmcnt(0)
	;; [unrolled: 19-line block ×8, first 2 shown]
	ds_write_b128 v8, v[58:61]
	ds_write_b128 v8, v[62:65] offset:2400
	ds_write_b128 v8, v[4:7] offset:4800
	buffer_load_dword v4, off, s[36:39], 0 offset:600 ; 4-byte Folded Reload
	v_add_f64 v[40:41], v[0:1], v[48:49]
	v_add_f64 v[50:51], v[40:41], v[46:47]
	;; [unrolled: 1-line block ×3, first 2 shown]
	v_fmac_f64_e32 v[0:1], -0.5, v[40:41]
	v_add_f64 v[52:53], v[44:45], -v[42:43]
	v_fma_f64 v[40:41], s[4:5], v[52:53], v[0:1]
	v_fmac_f64_e32 v[0:1], s[2:3], v[52:53]
	v_add_f64 v[52:53], v[2:3], v[44:45]
	v_add_f64 v[52:53], v[52:53], v[42:43]
	;; [unrolled: 1-line block ×3, first 2 shown]
	v_fmac_f64_e32 v[2:3], -0.5, v[42:43]
	v_add_f64 v[44:45], v[48:49], -v[46:47]
	v_accvgpr_read_b32 v125, a67
	v_fma_f64 v[42:43], s[2:3], v[44:45], v[2:3]
	v_fmac_f64_e32 v[2:3], s[4:5], v[44:45]
	v_accvgpr_read_b32 v124, a66
	s_waitcnt vmcnt(0)
	ds_write_b128 v4, v[50:53] offset:57600
	ds_write_b128 v4, v[40:43] offset:60000
	;; [unrolled: 1-line block ×3, first 2 shown]
	s_waitcnt lgkmcnt(0)
	s_barrier
	ds_read_b128 v[36:39], v187
	ds_read_b128 v[116:119], v187 offset:21600
	ds_read_b128 v[112:115], v187 offset:43200
	;; [unrolled: 1-line block ×29, first 2 shown]
	v_accvgpr_read_b32 v123, a65
	v_accvgpr_read_b32 v122, a64
	s_waitcnt lgkmcnt(14)
	v_mul_f64 v[120:121], v[124:125], v[118:119]
	v_fmac_f64_e32 v[120:121], v[122:123], v[116:117]
	v_mul_f64 v[116:117], v[124:125], v[116:117]
	v_fma_f64 v[122:123], v[122:123], v[118:119], -v[116:117]
	v_accvgpr_read_b32 v119, a63
	v_accvgpr_read_b32 v118, a62
	v_accvgpr_read_b32 v117, a61
	v_accvgpr_read_b32 v116, a60
	v_mul_f64 v[124:125], v[118:119], v[114:115]
	v_fmac_f64_e32 v[124:125], v[116:117], v[112:113]
	v_mul_f64 v[112:113], v[118:119], v[112:113]
	v_fma_f64 v[112:113], v[116:117], v[114:115], -v[112:113]
	v_accvgpr_read_b32 v117, a59
	v_accvgpr_read_b32 v116, a58
	v_accvgpr_read_b32 v115, a57
	v_accvgpr_read_b32 v114, a56
	;; [unrolled: 8-line block ×10, first 2 shown]
	s_waitcnt lgkmcnt(13)
	v_mul_f64 v[188:189], v[86:87], v[78:79]
	v_fmac_f64_e32 v[188:189], v[84:85], v[76:77]
	v_mul_f64 v[76:77], v[86:87], v[76:77]
	v_fma_f64 v[250:251], v[84:85], v[78:79], -v[76:77]
	v_accvgpr_read_b32 v79, a23
	v_accvgpr_read_b32 v78, a22
	v_accvgpr_read_b32 v77, a21
	v_accvgpr_read_b32 v76, a20
	s_waitcnt lgkmcnt(12)
	v_mul_f64 v[252:253], v[78:79], v[74:75]
	v_fmac_f64_e32 v[252:253], v[76:77], v[72:73]
	v_mul_f64 v[72:73], v[78:79], v[72:73]
	v_fma_f64 v[74:75], v[76:77], v[74:75], -v[72:73]
	v_accvgpr_read_b32 v79, a19
	v_accvgpr_read_b32 v78, a18
	v_accvgpr_read_b32 v77, a17
	v_accvgpr_read_b32 v76, a16
	;; [unrolled: 9-line block ×5, first 2 shown]
	s_waitcnt lgkmcnt(6)
	v_mul_f64 v[62:63], v[78:79], v[58:59]
	v_fmac_f64_e32 v[62:63], v[76:77], v[56:57]
	v_mul_f64 v[56:57], v[78:79], v[56:57]
	v_fma_f64 v[58:59], v[76:77], v[58:59], -v[56:57]
	s_waitcnt lgkmcnt(4)
	v_mul_f64 v[56:57], v[246:247], v[54:55]
	v_fmac_f64_e32 v[56:57], v[244:245], v[52:53]
	v_mul_f64 v[52:53], v[246:247], v[52:53]
	s_waitcnt lgkmcnt(1)
	v_mul_f64 v[246:247], v[236:237], v[46:47]
	v_fmac_f64_e32 v[246:247], v[234:235], v[44:45]
	v_mul_f64 v[44:45], v[236:237], v[44:45]
	;; [unrolled: 4-line block ×3, first 2 shown]
	v_fma_f64 v[42:43], v[238:239], v[42:43], -v[40:41]
	v_add_f64 v[40:41], v[36:37], v[120:121]
	v_add_f64 v[116:117], v[40:41], v[124:125]
	v_add_f64 v[40:41], v[120:121], v[124:125]
	v_fmac_f64_e32 v[36:37], -0.5, v[40:41]
	v_add_f64 v[40:41], v[122:123], -v[112:113]
	v_fma_f64 v[108:109], s[4:5], v[40:41], v[36:37]
	v_fmac_f64_e32 v[36:37], s[2:3], v[40:41]
	v_add_f64 v[40:41], v[38:39], v[122:123]
	v_add_f64 v[118:119], v[40:41], v[112:113]
	v_add_f64 v[40:41], v[122:123], v[112:113]
	v_fmac_f64_e32 v[38:39], -0.5, v[40:41]
	v_add_f64 v[40:41], v[120:121], -v[124:125]
	v_fma_f64 v[110:111], s[2:3], v[40:41], v[38:39]
	v_fmac_f64_e32 v[38:39], s[4:5], v[40:41]
	;; [unrolled: 7-line block ×6, first 2 shown]
	s_barrier
	ds_write_b128 v187, v[116:119]
	ds_write_b128 v187, v[108:111] offset:7200
	ds_write_b128 v187, v[36:39] offset:14400
	;; [unrolled: 1-line block ×8, first 2 shown]
	buffer_load_dword v28, off, s[36:39], 0 offset:876 ; 4-byte Folded Reload
	v_add_f64 v[40:41], v[24:25], v[138:139]
	v_add_f64 v[92:93], v[40:41], v[142:143]
	v_add_f64 v[40:41], v[138:139], v[142:143]
	v_fmac_f64_e32 v[24:25], -0.5, v[40:41]
	v_add_f64 v[40:41], v[140:141], -v[90:91]
	v_fma_f64 v[88:89], s[4:5], v[40:41], v[24:25]
	v_fmac_f64_e32 v[24:25], s[2:3], v[40:41]
	v_add_f64 v[40:41], v[26:27], v[140:141]
	v_add_f64 v[94:95], v[40:41], v[90:91]
	v_add_f64 v[40:41], v[140:141], v[90:91]
	v_fmac_f64_e32 v[26:27], -0.5, v[40:41]
	v_add_f64 v[40:41], v[138:139], -v[142:143]
	v_fma_f64 v[90:91], s[2:3], v[40:41], v[26:27]
	v_fmac_f64_e32 v[26:27], s[4:5], v[40:41]
	;; [unrolled: 7-line block ×6, first 2 shown]
	s_waitcnt vmcnt(0)
	ds_write_b128 v28, v[92:95]
	ds_write_b128 v28, v[88:91] offset:7200
	ds_write_b128 v28, v[24:27] offset:14400
	;; [unrolled: 1-line block ×8, first 2 shown]
	buffer_load_dword v16, off, s[36:39], 0 offset:880 ; 4-byte Folded Reload
	v_add_f64 v[40:41], v[12:13], v[254:255]
	v_add_f64 v[120:121], v[40:41], v[70:71]
	;; [unrolled: 1-line block ×3, first 2 shown]
	v_fmac_f64_e32 v[12:13], -0.5, v[40:41]
	v_add_f64 v[40:41], v[68:69], -v[66:67]
	v_fma_f64 v[124:125], s[4:5], v[40:41], v[12:13]
	v_fmac_f64_e32 v[12:13], s[2:3], v[40:41]
	v_add_f64 v[40:41], v[14:15], v[68:69]
	v_add_f64 v[122:123], v[40:41], v[66:67]
	;; [unrolled: 1-line block ×3, first 2 shown]
	v_fmac_f64_e32 v[14:15], -0.5, v[40:41]
	v_add_f64 v[40:41], v[254:255], -v[70:71]
	v_fma_f64 v[126:127], s[2:3], v[40:41], v[14:15]
	v_fmac_f64_e32 v[14:15], s[4:5], v[40:41]
	s_waitcnt vmcnt(0)
	ds_write_b128 v16, v[120:123]
	ds_write_b128 v16, v[124:127] offset:7200
	ds_write_b128 v16, v[12:15] offset:14400
	buffer_load_dword v12, off, s[36:39], 0 offset:864 ; 4-byte Folded Reload
	v_add_f64 v[40:41], v[8:9], v[64:65]
	v_add_f64 v[66:67], v[40:41], v[62:63]
	;; [unrolled: 1-line block ×3, first 2 shown]
	v_fmac_f64_e32 v[8:9], -0.5, v[40:41]
	v_add_f64 v[40:41], v[60:61], -v[58:59]
	v_fma_f64 v[128:129], s[4:5], v[40:41], v[8:9]
	v_fmac_f64_e32 v[8:9], s[2:3], v[40:41]
	v_add_f64 v[40:41], v[10:11], v[60:61]
	v_add_f64 v[68:69], v[40:41], v[58:59]
	;; [unrolled: 1-line block ×3, first 2 shown]
	v_fmac_f64_e32 v[10:11], -0.5, v[40:41]
	v_add_f64 v[40:41], v[64:65], -v[62:63]
	v_fma_f64 v[130:131], s[2:3], v[40:41], v[10:11]
	v_fmac_f64_e32 v[10:11], s[4:5], v[40:41]
	s_waitcnt vmcnt(0)
	ds_write_b128 v12, v[66:69] offset:43200
	ds_write_b128 v12, v[128:131] offset:50400
	ds_write_b128 v12, v[8:11] offset:57600
	buffer_load_dword v8, off, s[36:39], 0 offset:868 ; 4-byte Folded Reload
	v_fma_f64 v[242:243], v[244:245], v[54:55], -v[52:53]
	v_accvgpr_read_b32 v55, a3
	v_accvgpr_read_b32 v54, a2
	;; [unrolled: 1-line block ×4, first 2 shown]
	v_mul_f64 v[244:245], v[54:55], v[50:51]
	v_fmac_f64_e32 v[244:245], v[52:53], v[48:49]
	v_mul_f64 v[48:49], v[54:55], v[48:49]
	v_add_f64 v[40:41], v[4:5], v[56:57]
	v_fma_f64 v[50:51], v[52:53], v[50:51], -v[48:49]
	v_add_f64 v[52:53], v[40:41], v[244:245]
	v_add_f64 v[40:41], v[56:57], v[244:245]
	v_fmac_f64_e32 v[4:5], -0.5, v[40:41]
	v_add_f64 v[40:41], v[242:243], -v[50:51]
	v_fma_f64 v[48:49], s[4:5], v[40:41], v[4:5]
	v_fmac_f64_e32 v[4:5], s[2:3], v[40:41]
	v_add_f64 v[40:41], v[6:7], v[242:243]
	v_add_f64 v[54:55], v[40:41], v[50:51]
	;; [unrolled: 1-line block ×3, first 2 shown]
	v_fmac_f64_e32 v[6:7], -0.5, v[40:41]
	v_add_f64 v[40:41], v[56:57], -v[244:245]
	v_fma_f64 v[50:51], s[2:3], v[40:41], v[6:7]
	v_fmac_f64_e32 v[6:7], s[4:5], v[40:41]
	s_waitcnt vmcnt(0)
	ds_write_b128 v8, v[52:55] offset:43200
	ds_write_b128 v8, v[48:51] offset:50400
	;; [unrolled: 1-line block ×3, first 2 shown]
	buffer_load_dword v4, off, s[36:39], 0 offset:872 ; 4-byte Folded Reload
	v_add_f64 v[40:41], v[0:1], v[246:247]
	v_fma_f64 v[234:235], v[234:235], v[46:47], -v[44:45]
	v_add_f64 v[44:45], v[40:41], v[236:237]
	v_add_f64 v[40:41], v[246:247], v[236:237]
	v_fmac_f64_e32 v[0:1], -0.5, v[40:41]
	v_add_f64 v[46:47], v[234:235], -v[42:43]
	v_fma_f64 v[40:41], s[4:5], v[46:47], v[0:1]
	v_fmac_f64_e32 v[0:1], s[2:3], v[46:47]
	v_add_f64 v[46:47], v[2:3], v[234:235]
	v_add_f64 v[46:47], v[46:47], v[42:43]
	;; [unrolled: 1-line block ×3, first 2 shown]
	v_fmac_f64_e32 v[2:3], -0.5, v[42:43]
	v_add_f64 v[56:57], v[246:247], -v[236:237]
	v_fma_f64 v[42:43], s[2:3], v[56:57], v[2:3]
	v_fmac_f64_e32 v[2:3], s[4:5], v[56:57]
	s_waitcnt vmcnt(0)
	ds_write_b128 v4, v[44:47] offset:43200
	ds_write_b128 v4, v[40:43] offset:50400
	;; [unrolled: 1-line block ×3, first 2 shown]
	s_waitcnt lgkmcnt(0)
	s_barrier
	ds_read_b128 v[20:23], v187
	ds_read_b128 v[84:87], v187 offset:21600
	ds_read_b128 v[76:79], v187 offset:43200
	;; [unrolled: 1-line block ×29, first 2 shown]
	s_waitcnt lgkmcnt(14)
	v_mul_f64 v[120:121], v[228:229], v[86:87]
	v_fmac_f64_e32 v[120:121], v[226:227], v[84:85]
	v_mul_f64 v[84:85], v[228:229], v[84:85]
	v_fma_f64 v[84:85], v[226:227], v[86:87], -v[84:85]
	v_mul_f64 v[86:87], v[232:233], v[78:79]
	v_fmac_f64_e32 v[86:87], v[230:231], v[76:77]
	v_mul_f64 v[76:77], v[232:233], v[76:77]
	v_fma_f64 v[76:77], v[230:231], v[78:79], -v[76:77]
	;; [unrolled: 4-line block ×3, first 2 shown]
	v_mul_f64 v[104:105], v[224:225], v[112:113]
	v_fma_f64 v[126:127], v[222:223], v[114:115], -v[104:105]
	v_mul_f64 v[104:105], v[212:213], v[116:117]
	v_fma_f64 v[130:131], v[210:211], v[118:119], -v[104:105]
	v_mul_f64 v[104:105], v[216:217], v[108:109]
	v_mul_f64 v[140:141], v[208:209], v[98:99]
	v_fma_f64 v[134:135], v[214:215], v[110:111], -v[104:105]
	v_fmac_f64_e32 v[140:141], v[206:207], v[96:97]
	v_mul_f64 v[96:97], v[208:209], v[96:97]
	s_waitcnt lgkmcnt(0)
	v_mul_f64 v[104:105], v[154:155], v[42:43]
	v_mul_f64 v[132:133], v[216:217], v[110:111]
	v_fma_f64 v[142:143], v[206:207], v[98:99], -v[96:97]
	v_mul_f64 v[96:97], v[158:159], v[54:55]
	v_fmac_f64_e32 v[104:105], v[152:153], v[40:41]
	v_mul_f64 v[40:41], v[154:155], v[40:41]
	v_fmac_f64_e32 v[132:133], v[214:215], v[108:109]
	v_fmac_f64_e32 v[96:97], v[156:157], v[52:53]
	v_mul_f64 v[52:53], v[158:159], v[52:53]
	v_fma_f64 v[108:109], v[152:153], v[42:43], -v[40:41]
	v_add_f64 v[40:41], v[20:21], v[120:121]
	v_fma_f64 v[106:107], v[156:157], v[54:55], -v[52:53]
	v_add_f64 v[52:53], v[40:41], v[86:87]
	v_add_f64 v[40:41], v[120:121], v[86:87]
	v_mul_f64 v[136:137], v[204:205], v[102:103]
	v_fmac_f64_e32 v[20:21], -0.5, v[40:41]
	v_add_f64 v[42:43], v[84:85], -v[76:77]
	v_mul_f64 v[124:125], v[224:225], v[114:115]
	v_fmac_f64_e32 v[136:137], v[202:203], v[100:101]
	v_mul_f64 v[100:101], v[204:205], v[100:101]
	v_mul_f64 v[144:145], v[196:197], v[94:95]
	;; [unrolled: 1-line block ×3, first 2 shown]
	v_fma_f64 v[40:41], s[4:5], v[42:43], v[20:21]
	v_fmac_f64_e32 v[20:21], s[2:3], v[42:43]
	v_add_f64 v[42:43], v[22:23], v[84:85]
	v_fmac_f64_e32 v[124:125], v[222:223], v[112:113]
	v_fma_f64 v[138:139], v[202:203], v[102:103], -v[100:101]
	v_fmac_f64_e32 v[144:145], v[194:195], v[92:93]
	v_mul_f64 v[92:93], v[196:197], v[92:93]
	v_mul_f64 v[100:101], v[162:163], v[50:51]
	v_fmac_f64_e32 v[98:99], v[148:149], v[44:45]
	v_mul_f64 v[44:45], v[150:151], v[44:45]
	v_add_f64 v[54:55], v[42:43], v[76:77]
	v_add_f64 v[42:43], v[84:85], v[76:77]
	v_mul_f64 v[128:129], v[212:213], v[118:119]
	v_fma_f64 v[92:93], v[194:195], v[94:95], -v[92:93]
	v_mul_f64 v[94:95], v[200:201], v[90:91]
	v_mul_f64 v[114:115], v[170:171], v[58:59]
	v_fmac_f64_e32 v[100:101], v[160:161], v[48:49]
	v_mul_f64 v[48:49], v[162:163], v[48:49]
	v_fma_f64 v[102:103], v[148:149], v[46:47], -v[44:45]
	v_fmac_f64_e32 v[22:23], -0.5, v[42:43]
	v_add_f64 v[44:45], v[120:121], -v[86:87]
	v_add_f64 v[46:47], v[78:79], v[124:125]
	v_fmac_f64_e32 v[128:129], v[210:211], v[116:117]
	v_fmac_f64_e32 v[94:95], v[198:199], v[88:89]
	v_mul_f64 v[88:89], v[200:201], v[88:89]
	v_mul_f64 v[184:185], v[174:175], v[70:71]
	;; [unrolled: 1-line block ×3, first 2 shown]
	v_fmac_f64_e32 v[114:115], v[168:169], v[56:57]
	v_mul_f64 v[56:57], v[170:171], v[56:57]
	v_fma_f64 v[110:111], v[160:161], v[50:51], -v[48:49]
	v_fma_f64 v[42:43], s[2:3], v[44:45], v[22:23]
	v_fmac_f64_e32 v[22:23], s[4:5], v[44:45]
	v_add_f64 v[44:45], v[28:29], v[78:79]
	v_fmac_f64_e32 v[28:29], -0.5, v[46:47]
	v_add_f64 v[46:47], v[122:123], -v[126:127]
	v_add_f64 v[50:51], v[122:123], v[126:127]
	v_fma_f64 v[88:89], v[198:199], v[90:91], -v[88:89]
	v_mul_f64 v[90:91], v[182:183], v[82:83]
	v_fmac_f64_e32 v[184:185], v[172:173], v[68:69]
	v_mul_f64 v[68:69], v[174:175], v[68:69]
	v_mul_f64 v[174:175], v[178:179], v[66:67]
	v_fmac_f64_e32 v[112:113], v[164:165], v[60:61]
	v_mul_f64 v[60:61], v[166:167], v[60:61]
	v_fma_f64 v[118:119], v[168:169], v[58:59], -v[56:57]
	v_fma_f64 v[48:49], s[4:5], v[46:47], v[28:29]
	v_fmac_f64_e32 v[28:29], s[2:3], v[46:47]
	v_add_f64 v[46:47], v[30:31], v[122:123]
	v_fmac_f64_e32 v[30:31], -0.5, v[50:51]
	v_add_f64 v[56:57], v[78:79], -v[124:125]
	v_add_f64 v[58:59], v[128:129], v[132:133]
	v_fmac_f64_e32 v[90:91], v[180:181], v[80:81]
	v_mul_f64 v[80:81], v[182:183], v[80:81]
	v_fmac_f64_e32 v[174:175], v[176:177], v[64:65]
	v_mul_f64 v[64:65], v[178:179], v[64:65]
	v_fma_f64 v[116:117], v[164:165], v[62:63], -v[60:61]
	v_fma_f64 v[50:51], s[2:3], v[56:57], v[30:31]
	v_fmac_f64_e32 v[30:31], s[4:5], v[56:57]
	v_add_f64 v[56:57], v[36:37], v[128:129]
	v_fmac_f64_e32 v[36:37], -0.5, v[58:59]
	v_add_f64 v[58:59], v[130:131], -v[134:135]
	v_add_f64 v[62:63], v[130:131], v[134:135]
	v_fma_f64 v[146:147], v[180:181], v[82:83], -v[80:81]
	v_mul_f64 v[180:181], v[192:193], v[74:75]
	v_fma_f64 v[176:177], v[176:177], v[66:67], -v[64:65]
	v_fma_f64 v[60:61], s[4:5], v[58:59], v[36:37]
	v_fmac_f64_e32 v[36:37], s[2:3], v[58:59]
	v_add_f64 v[58:59], v[38:39], v[130:131]
	v_fmac_f64_e32 v[38:39], -0.5, v[62:63]
	v_add_f64 v[64:65], v[128:129], -v[132:133]
	v_add_f64 v[66:67], v[136:137], v[140:141]
	v_fmac_f64_e32 v[180:181], v[190:191], v[72:73]
	v_mul_f64 v[72:73], v[192:193], v[72:73]
	v_fma_f64 v[172:173], v[172:173], v[70:71], -v[68:69]
	v_fma_f64 v[62:63], s[2:3], v[64:65], v[38:39]
	v_fmac_f64_e32 v[38:39], s[4:5], v[64:65]
	v_add_f64 v[64:65], v[32:33], v[136:137]
	v_fmac_f64_e32 v[32:33], -0.5, v[66:67]
	v_add_f64 v[66:67], v[138:139], -v[142:143]
	v_add_f64 v[70:71], v[138:139], v[142:143]
	v_fma_f64 v[182:183], v[190:191], v[74:75], -v[72:73]
	v_fma_f64 v[68:69], s[4:5], v[66:67], v[32:33]
	v_fmac_f64_e32 v[32:33], s[2:3], v[66:67]
	v_add_f64 v[66:67], v[34:35], v[138:139]
	v_fmac_f64_e32 v[34:35], -0.5, v[70:71]
	v_add_f64 v[72:73], v[136:137], -v[140:141]
	v_add_f64 v[74:75], v[144:145], v[94:95]
	v_fma_f64 v[70:71], s[2:3], v[72:73], v[34:35]
	v_fmac_f64_e32 v[34:35], s[4:5], v[72:73]
	v_add_f64 v[72:73], v[24:25], v[144:145]
	v_fmac_f64_e32 v[24:25], -0.5, v[74:75]
	v_add_f64 v[74:75], v[92:93], -v[88:89]
	v_add_f64 v[78:79], v[92:93], v[88:89]
	;; [unrolled: 6-line block ×4, first 2 shown]
	v_add_f64 v[74:75], v[74:75], v[88:89]
	v_fma_f64 v[84:85], s[4:5], v[82:83], v[16:17]
	v_fmac_f64_e32 v[16:17], s[2:3], v[82:83]
	v_add_f64 v[82:83], v[18:19], v[146:147]
	v_fmac_f64_e32 v[18:19], -0.5, v[86:87]
	v_add_f64 v[88:89], v[90:91], -v[180:181]
	v_add_f64 v[90:91], v[184:185], v[174:175]
	v_add_f64 v[72:73], v[72:73], v[94:95]
	v_fma_f64 v[86:87], s[2:3], v[88:89], v[18:19]
	v_fmac_f64_e32 v[18:19], s[4:5], v[88:89]
	v_add_f64 v[88:89], v[12:13], v[184:185]
	v_fmac_f64_e32 v[12:13], -0.5, v[90:91]
	v_add_f64 v[90:91], v[172:173], -v[176:177]
	v_add_f64 v[94:95], v[172:173], v[176:177]
	v_fma_f64 v[92:93], s[4:5], v[90:91], v[12:13]
	v_fmac_f64_e32 v[12:13], s[2:3], v[90:91]
	v_add_f64 v[90:91], v[14:15], v[172:173]
	v_fmac_f64_e32 v[14:15], -0.5, v[94:95]
	v_add_f64 v[120:121], v[184:185], -v[174:175]
	;; [unrolled: 6-line block ×3, first 2 shown]
	v_add_f64 v[44:45], v[44:45], v[124:125]
	v_fma_f64 v[124:125], s[4:5], v[122:123], v[8:9]
	v_fmac_f64_e32 v[8:9], s[2:3], v[122:123]
	v_add_f64 v[122:123], v[10:11], v[116:117]
	v_add_f64 v[116:117], v[116:117], v[118:119]
	;; [unrolled: 1-line block ×3, first 2 shown]
	v_fmac_f64_e32 v[10:11], -0.5, v[116:117]
	v_add_f64 v[112:113], v[112:113], -v[114:115]
	v_add_f64 v[114:115], v[96:97], v[100:101]
	v_add_f64 v[46:47], v[46:47], v[126:127]
	v_fma_f64 v[126:127], s[2:3], v[112:113], v[10:11]
	v_fmac_f64_e32 v[10:11], s[4:5], v[112:113]
	v_add_f64 v[112:113], v[4:5], v[96:97]
	v_fmac_f64_e32 v[4:5], -0.5, v[114:115]
	v_add_f64 v[114:115], v[106:107], -v[110:111]
	v_fma_f64 v[116:117], s[4:5], v[114:115], v[4:5]
	v_fmac_f64_e32 v[4:5], s[2:3], v[114:115]
	v_add_f64 v[114:115], v[6:7], v[106:107]
	v_add_f64 v[106:107], v[106:107], v[110:111]
	v_fmac_f64_e32 v[6:7], -0.5, v[106:107]
	v_add_f64 v[96:97], v[96:97], -v[100:101]
	v_add_f64 v[122:123], v[122:123], v[118:119]
	v_fma_f64 v[118:119], s[2:3], v[96:97], v[6:7]
	v_fmac_f64_e32 v[6:7], s[4:5], v[96:97]
	v_add_f64 v[96:97], v[0:1], v[98:99]
	v_add_f64 v[128:129], v[96:97], v[104:105]
	;; [unrolled: 1-line block ×4, first 2 shown]
	v_fmac_f64_e32 v[0:1], -0.5, v[96:97]
	v_add_f64 v[100:101], v[102:103], -v[108:109]
	v_fma_f64 v[96:97], s[4:5], v[100:101], v[0:1]
	v_fmac_f64_e32 v[0:1], s[2:3], v[100:101]
	v_add_f64 v[100:101], v[2:3], v[102:103]
	v_add_f64 v[130:131], v[100:101], v[108:109]
	;; [unrolled: 1-line block ×3, first 2 shown]
	v_fmac_f64_e32 v[2:3], -0.5, v[100:101]
	v_add_f64 v[100:101], v[98:99], -v[104:105]
	v_fma_f64 v[98:99], s[2:3], v[100:101], v[2:3]
	v_fmac_f64_e32 v[2:3], s[4:5], v[100:101]
	v_add_f64 v[56:57], v[56:57], v[132:133]
	v_add_f64 v[58:59], v[58:59], v[134:135]
	;; [unrolled: 1-line block ×9, first 2 shown]
	ds_write_b128 v187, v[52:55]
	ds_write_b128 v187, v[40:43] offset:21600
	ds_write_b128 v187, v[20:23] offset:43200
	;; [unrolled: 1-line block ×29, first 2 shown]
	s_waitcnt lgkmcnt(0)
	s_barrier
	ds_read_b128 v[0:3], v187
	buffer_load_dword v6, off, s[36:39], 0 offset:12 ; 4-byte Folded Reload
	buffer_load_dword v7, off, s[36:39], 0 offset:16 ; 4-byte Folded Reload
	buffer_load_dword v8, off, s[36:39], 0 offset:20 ; 4-byte Folded Reload
	buffer_load_dword v9, off, s[36:39], 0 offset:24 ; 4-byte Folded Reload
	s_mov_b32 s2, 0xc0898b71
	s_mov_b32 s3, 0x3f302e85
	s_waitcnt vmcnt(0) lgkmcnt(0)
	v_mul_f64 v[4:5], v[8:9], v[2:3]
	v_fmac_f64_e32 v[4:5], v[6:7], v[0:1]
	v_mul_f64 v[0:1], v[8:9], v[0:1]
	v_fma_f64 v[0:1], v[6:7], v[2:3], -v[0:1]
	buffer_load_dword v3, off, s[36:39], 0  ; 4-byte Folded Reload
	v_mul_f64 v[6:7], v[0:1], s[2:3]
	v_mov_b32_e32 v8, s13
	v_mul_f64 v[4:5], v[4:5], s[2:3]
	s_waitcnt vmcnt(0)
	v_mad_u64_u32 v[0:1], s[4:5], s0, v3, 0
	v_mov_b32_e32 v2, v1
	v_mad_u64_u32 v[2:3], s[4:5], s1, v3, v[2:3]
	v_mov_b32_e32 v1, v2
	buffer_load_dword v2, off, s[36:39], 0 offset:516 ; 4-byte Folded Reload
	buffer_load_dword v3, off, s[36:39], 0 offset:520 ; 4-byte Folded Reload
	v_lshlrev_b64 v[0:1], 4, v[0:1]
	s_waitcnt vmcnt(0)
	v_lshlrev_b64 v[2:3], 4, v[2:3]
	v_add_co_u32_e32 v2, vcc, s12, v2
	v_addc_co_u32_e32 v3, vcc, v8, v3, vcc
	v_add_co_u32_e32 v8, vcc, v2, v0
	v_addc_co_u32_e32 v9, vcc, v3, v1, vcc
	global_store_dwordx4 v[8:9], v[4:7], off
	ds_read_b128 v[0:3], v187 offset:6480
	buffer_load_dword v10, off, s[36:39], 0 offset:28 ; 4-byte Folded Reload
	buffer_load_dword v11, off, s[36:39], 0 offset:32 ; 4-byte Folded Reload
	;; [unrolled: 1-line block ×4, first 2 shown]
	v_mad_u64_u32 v[8:9], s[4:5], s0, v186, v[8:9]
	s_mul_i32 s4, s1, 0x1950
	v_add_u32_e32 v9, s4, v9
	s_mul_i32 s1, s1, 0xffff24a0
	s_sub_i32 s1, s1, s0
	s_waitcnt vmcnt(0) lgkmcnt(0)
	v_mul_f64 v[4:5], v[12:13], v[2:3]
	v_fmac_f64_e32 v[4:5], v[10:11], v[0:1]
	v_mul_f64 v[0:1], v[12:13], v[0:1]
	v_fma_f64 v[0:1], v[10:11], v[2:3], -v[0:1]
	v_mul_f64 v[4:5], v[4:5], s[2:3]
	v_mul_f64 v[6:7], v[0:1], s[2:3]
	global_store_dwordx4 v[8:9], v[4:7], off
	ds_read_b128 v[0:3], v187 offset:12960
	buffer_load_dword v10, off, s[36:39], 0 offset:76 ; 4-byte Folded Reload
	buffer_load_dword v11, off, s[36:39], 0 offset:80 ; 4-byte Folded Reload
	buffer_load_dword v12, off, s[36:39], 0 offset:84 ; 4-byte Folded Reload
	buffer_load_dword v13, off, s[36:39], 0 offset:88 ; 4-byte Folded Reload
	v_mad_u64_u32 v[8:9], s[6:7], s0, v186, v[8:9]
	v_add_u32_e32 v9, s4, v9
	s_waitcnt vmcnt(0) lgkmcnt(0)
	v_mul_f64 v[4:5], v[12:13], v[2:3]
	v_fmac_f64_e32 v[4:5], v[10:11], v[0:1]
	v_mul_f64 v[0:1], v[12:13], v[0:1]
	v_fma_f64 v[0:1], v[10:11], v[2:3], -v[0:1]
	v_mul_f64 v[4:5], v[4:5], s[2:3]
	v_mul_f64 v[6:7], v[0:1], s[2:3]
	global_store_dwordx4 v[8:9], v[4:7], off
	ds_read_b128 v[0:3], v187 offset:19440
	buffer_load_dword v10, off, s[36:39], 0 offset:108 ; 4-byte Folded Reload
	buffer_load_dword v11, off, s[36:39], 0 offset:112 ; 4-byte Folded Reload
	buffer_load_dword v12, off, s[36:39], 0 offset:116 ; 4-byte Folded Reload
	buffer_load_dword v13, off, s[36:39], 0 offset:120 ; 4-byte Folded Reload
	v_mad_u64_u32 v[8:9], s[6:7], s0, v186, v[8:9]
	v_add_u32_e32 v9, s4, v9
	;; [unrolled: 15-line block ×7, first 2 shown]
	s_waitcnt vmcnt(0) lgkmcnt(0)
	v_mul_f64 v[4:5], v[12:13], v[2:3]
	v_fmac_f64_e32 v[4:5], v[10:11], v[0:1]
	v_mul_f64 v[0:1], v[12:13], v[0:1]
	v_fma_f64 v[0:1], v[10:11], v[2:3], -v[0:1]
	v_mul_f64 v[4:5], v[4:5], s[2:3]
	v_mul_f64 v[6:7], v[0:1], s[2:3]
	global_store_dwordx4 v[8:9], v[4:7], off
	ds_read_b128 v[0:3], v187 offset:58320
	buffer_load_dword v10, off, s[36:39], 0 offset:532 ; 4-byte Folded Reload
	buffer_load_dword v11, off, s[36:39], 0 offset:536 ; 4-byte Folded Reload
	;; [unrolled: 1-line block ×4, first 2 shown]
	s_waitcnt vmcnt(0) lgkmcnt(0)
	v_mul_f64 v[4:5], v[12:13], v[2:3]
	v_fmac_f64_e32 v[4:5], v[10:11], v[0:1]
	v_mul_f64 v[0:1], v[12:13], v[0:1]
	v_fma_f64 v[0:1], v[10:11], v[2:3], -v[0:1]
	v_mul_f64 v[6:7], v[0:1], s[2:3]
	v_mad_u64_u32 v[0:1], s[6:7], s0, v186, v[8:9]
	v_mul_f64 v[4:5], v[4:5], s[2:3]
	v_add_u32_e32 v1, s4, v1
	global_store_dwordx4 v[0:1], v[4:7], off
	ds_read_b128 v[2:5], v187 offset:2160
	buffer_load_dword v8, off, s[36:39], 0 offset:44 ; 4-byte Folded Reload
	buffer_load_dword v9, off, s[36:39], 0 offset:48 ; 4-byte Folded Reload
	;; [unrolled: 1-line block ×4, first 2 shown]
	v_mov_b32_e32 v12, 0xffff24a0
	s_waitcnt vmcnt(0) lgkmcnt(0)
	v_mul_f64 v[6:7], v[10:11], v[4:5]
	v_fmac_f64_e32 v[6:7], v[8:9], v[2:3]
	v_mul_f64 v[2:3], v[10:11], v[2:3]
	v_fma_f64 v[2:3], v[8:9], v[4:5], -v[2:3]
	v_mad_u64_u32 v[10:11], s[6:7], s0, v12, v[0:1]
	v_mul_f64 v[6:7], v[6:7], s[2:3]
	v_mul_f64 v[8:9], v[2:3], s[2:3]
	v_add_u32_e32 v11, s1, v11
	global_store_dwordx4 v[10:11], v[6:9], off
	ds_read_b128 v[0:3], v187 offset:8640
	buffer_load_dword v6, off, s[36:39], 0 offset:60 ; 4-byte Folded Reload
	buffer_load_dword v7, off, s[36:39], 0 offset:64 ; 4-byte Folded Reload
	;; [unrolled: 1-line block ×4, first 2 shown]
	s_waitcnt vmcnt(0) lgkmcnt(0)
	v_mul_f64 v[4:5], v[8:9], v[2:3]
	v_fmac_f64_e32 v[4:5], v[6:7], v[0:1]
	v_mul_f64 v[0:1], v[8:9], v[0:1]
	v_fma_f64 v[0:1], v[6:7], v[2:3], -v[0:1]
	v_mad_u64_u32 v[8:9], s[6:7], s0, v186, v[10:11]
	v_mul_f64 v[4:5], v[4:5], s[2:3]
	v_mul_f64 v[6:7], v[0:1], s[2:3]
	v_add_u32_e32 v9, s4, v9
	global_store_dwordx4 v[8:9], v[4:7], off
	ds_read_b128 v[0:3], v187 offset:15120
	buffer_load_dword v14, off, s[36:39], 0 offset:92 ; 4-byte Folded Reload
	buffer_load_dword v15, off, s[36:39], 0 offset:96 ; 4-byte Folded Reload
	buffer_load_dword v16, off, s[36:39], 0 offset:100 ; 4-byte Folded Reload
	buffer_load_dword v17, off, s[36:39], 0 offset:104 ; 4-byte Folded Reload
	v_mad_u64_u32 v[8:9], s[6:7], s0, v186, v[8:9]
	v_add_u32_e32 v9, s4, v9
	s_waitcnt vmcnt(0) lgkmcnt(0)
	v_mul_f64 v[4:5], v[16:17], v[2:3]
	v_fmac_f64_e32 v[4:5], v[14:15], v[0:1]
	v_mul_f64 v[0:1], v[16:17], v[0:1]
	v_fma_f64 v[0:1], v[14:15], v[2:3], -v[0:1]
	v_mul_f64 v[4:5], v[4:5], s[2:3]
	v_mul_f64 v[6:7], v[0:1], s[2:3]
	global_store_dwordx4 v[8:9], v[4:7], off
	ds_read_b128 v[0:3], v187 offset:21600
	buffer_load_dword v14, off, s[36:39], 0 offset:356 ; 4-byte Folded Reload
	buffer_load_dword v15, off, s[36:39], 0 offset:360 ; 4-byte Folded Reload
	buffer_load_dword v16, off, s[36:39], 0 offset:364 ; 4-byte Folded Reload
	buffer_load_dword v17, off, s[36:39], 0 offset:368 ; 4-byte Folded Reload
	v_mad_u64_u32 v[8:9], s[6:7], s0, v186, v[8:9]
	v_add_u32_e32 v9, s4, v9
	s_waitcnt vmcnt(0) lgkmcnt(0)
	v_mul_f64 v[4:5], v[16:17], v[2:3]
	v_fmac_f64_e32 v[4:5], v[14:15], v[0:1]
	v_mul_f64 v[0:1], v[16:17], v[0:1]
	v_fma_f64 v[0:1], v[14:15], v[2:3], -v[0:1]
	v_mul_f64 v[4:5], v[4:5], s[2:3]
	v_mul_f64 v[6:7], v[0:1], s[2:3]
	;; [unrolled: 15-line block ×7, first 2 shown]
	global_store_dwordx4 v[8:9], v[4:7], off
	ds_read_b128 v[0:3], v187 offset:60480
	buffer_load_dword v14, off, s[36:39], 0 offset:324 ; 4-byte Folded Reload
	buffer_load_dword v15, off, s[36:39], 0 offset:328 ; 4-byte Folded Reload
	;; [unrolled: 1-line block ×4, first 2 shown]
	s_waitcnt vmcnt(0) lgkmcnt(0)
	v_mul_f64 v[4:5], v[16:17], v[2:3]
	v_fmac_f64_e32 v[4:5], v[14:15], v[0:1]
	v_mul_f64 v[0:1], v[16:17], v[0:1]
	v_fma_f64 v[0:1], v[14:15], v[2:3], -v[0:1]
	v_mul_f64 v[6:7], v[0:1], s[2:3]
	v_mad_u64_u32 v[0:1], s[6:7], s0, v186, v[8:9]
	v_mul_f64 v[4:5], v[4:5], s[2:3]
	v_add_u32_e32 v1, s4, v1
	global_store_dwordx4 v[0:1], v[4:7], off
	ds_read_b128 v[2:5], v187 offset:4320
	buffer_load_dword v8, off, s[36:39], 0 offset:140 ; 4-byte Folded Reload
	buffer_load_dword v9, off, s[36:39], 0 offset:144 ; 4-byte Folded Reload
	buffer_load_dword v10, off, s[36:39], 0 offset:148 ; 4-byte Folded Reload
	buffer_load_dword v11, off, s[36:39], 0 offset:152 ; 4-byte Folded Reload
	s_waitcnt vmcnt(0) lgkmcnt(0)
	v_mul_f64 v[6:7], v[10:11], v[4:5]
	v_fmac_f64_e32 v[6:7], v[8:9], v[2:3]
	v_mul_f64 v[2:3], v[10:11], v[2:3]
	v_fma_f64 v[2:3], v[8:9], v[4:5], -v[2:3]
	v_mad_u64_u32 v[10:11], s[6:7], s0, v12, v[0:1]
	v_mul_f64 v[6:7], v[6:7], s[2:3]
	v_mul_f64 v[8:9], v[2:3], s[2:3]
	v_add_u32_e32 v11, s1, v11
	global_store_dwordx4 v[10:11], v[6:9], off
	ds_read_b128 v[0:3], v187 offset:10800
	buffer_load_dword v6, off, s[36:39], 0 offset:156 ; 4-byte Folded Reload
	buffer_load_dword v7, off, s[36:39], 0 offset:160 ; 4-byte Folded Reload
	;; [unrolled: 1-line block ×4, first 2 shown]
	s_waitcnt vmcnt(0) lgkmcnt(0)
	v_mul_f64 v[4:5], v[8:9], v[2:3]
	v_fmac_f64_e32 v[4:5], v[6:7], v[0:1]
	v_mul_f64 v[0:1], v[8:9], v[0:1]
	v_fma_f64 v[0:1], v[6:7], v[2:3], -v[0:1]
	v_mad_u64_u32 v[8:9], s[6:7], s0, v186, v[10:11]
	v_mul_f64 v[4:5], v[4:5], s[2:3]
	v_mul_f64 v[6:7], v[0:1], s[2:3]
	v_add_u32_e32 v9, s4, v9
	global_store_dwordx4 v[8:9], v[4:7], off
	ds_read_b128 v[0:3], v187 offset:17280
	buffer_load_dword v10, off, s[36:39], 0 offset:260 ; 4-byte Folded Reload
	buffer_load_dword v11, off, s[36:39], 0 offset:264 ; 4-byte Folded Reload
	buffer_load_dword v12, off, s[36:39], 0 offset:268 ; 4-byte Folded Reload
	buffer_load_dword v13, off, s[36:39], 0 offset:272 ; 4-byte Folded Reload
	v_mad_u64_u32 v[8:9], s[6:7], s0, v186, v[8:9]
	v_add_u32_e32 v9, s4, v9
	s_waitcnt vmcnt(0) lgkmcnt(0)
	v_mul_f64 v[4:5], v[12:13], v[2:3]
	v_fmac_f64_e32 v[4:5], v[10:11], v[0:1]
	v_mul_f64 v[0:1], v[12:13], v[0:1]
	v_fma_f64 v[0:1], v[10:11], v[2:3], -v[0:1]
	v_mul_f64 v[4:5], v[4:5], s[2:3]
	v_mul_f64 v[6:7], v[0:1], s[2:3]
	global_store_dwordx4 v[8:9], v[4:7], off
	ds_read_b128 v[0:3], v187 offset:23760
	buffer_load_dword v10, off, s[36:39], 0 offset:208 ; 4-byte Folded Reload
	buffer_load_dword v11, off, s[36:39], 0 offset:212 ; 4-byte Folded Reload
	buffer_load_dword v12, off, s[36:39], 0 offset:216 ; 4-byte Folded Reload
	buffer_load_dword v13, off, s[36:39], 0 offset:220 ; 4-byte Folded Reload
	v_mad_u64_u32 v[8:9], s[6:7], s0, v186, v[8:9]
	v_add_u32_e32 v9, s4, v9
	s_waitcnt vmcnt(0) lgkmcnt(0)
	v_mul_f64 v[4:5], v[12:13], v[2:3]
	v_fmac_f64_e32 v[4:5], v[10:11], v[0:1]
	v_mul_f64 v[0:1], v[12:13], v[0:1]
	v_fma_f64 v[0:1], v[10:11], v[2:3], -v[0:1]
	v_mul_f64 v[4:5], v[4:5], s[2:3]
	v_mul_f64 v[6:7], v[0:1], s[2:3]
	;; [unrolled: 15-line block ×7, first 2 shown]
	global_store_dwordx4 v[8:9], v[4:7], off
	ds_read_b128 v[0:3], v187 offset:62640
	buffer_load_dword v10, off, s[36:39], 0 offset:276 ; 4-byte Folded Reload
	buffer_load_dword v11, off, s[36:39], 0 offset:280 ; 4-byte Folded Reload
	;; [unrolled: 1-line block ×4, first 2 shown]
	s_waitcnt vmcnt(0) lgkmcnt(0)
	v_mul_f64 v[4:5], v[12:13], v[2:3]
	v_fmac_f64_e32 v[4:5], v[10:11], v[0:1]
	v_mul_f64 v[0:1], v[12:13], v[0:1]
	v_fma_f64 v[0:1], v[10:11], v[2:3], -v[0:1]
	v_mul_f64 v[6:7], v[0:1], s[2:3]
	v_mad_u64_u32 v[0:1], s[0:1], s0, v186, v[8:9]
	v_mul_f64 v[4:5], v[4:5], s[2:3]
	v_add_u32_e32 v1, s4, v1
	global_store_dwordx4 v[0:1], v[4:7], off
.LBB0_2:
	s_endpgm
	.section	.rodata,"a",@progbits
	.p2align	6, 0x0
	.amdhsa_kernel bluestein_single_fwd_len4050_dim1_dp_op_CI_CI
		.amdhsa_group_segment_fixed_size 64800
		.amdhsa_private_segment_fixed_size 888
		.amdhsa_kernarg_size 104
		.amdhsa_user_sgpr_count 6
		.amdhsa_user_sgpr_private_segment_buffer 1
		.amdhsa_user_sgpr_dispatch_ptr 0
		.amdhsa_user_sgpr_queue_ptr 0
		.amdhsa_user_sgpr_kernarg_segment_ptr 1
		.amdhsa_user_sgpr_dispatch_id 0
		.amdhsa_user_sgpr_flat_scratch_init 0
		.amdhsa_user_sgpr_kernarg_preload_length 0
		.amdhsa_user_sgpr_kernarg_preload_offset 0
		.amdhsa_user_sgpr_private_segment_size 0
		.amdhsa_uses_dynamic_stack 0
		.amdhsa_system_sgpr_private_segment_wavefront_offset 1
		.amdhsa_system_sgpr_workgroup_id_x 1
		.amdhsa_system_sgpr_workgroup_id_y 0
		.amdhsa_system_sgpr_workgroup_id_z 0
		.amdhsa_system_sgpr_workgroup_info 0
		.amdhsa_system_vgpr_workitem_id 0
		.amdhsa_next_free_vgpr 512
		.amdhsa_next_free_sgpr 40
		.amdhsa_accum_offset 256
		.amdhsa_reserve_vcc 1
		.amdhsa_reserve_flat_scratch 0
		.amdhsa_float_round_mode_32 0
		.amdhsa_float_round_mode_16_64 0
		.amdhsa_float_denorm_mode_32 3
		.amdhsa_float_denorm_mode_16_64 3
		.amdhsa_dx10_clamp 1
		.amdhsa_ieee_mode 1
		.amdhsa_fp16_overflow 0
		.amdhsa_tg_split 0
		.amdhsa_exception_fp_ieee_invalid_op 0
		.amdhsa_exception_fp_denorm_src 0
		.amdhsa_exception_fp_ieee_div_zero 0
		.amdhsa_exception_fp_ieee_overflow 0
		.amdhsa_exception_fp_ieee_underflow 0
		.amdhsa_exception_fp_ieee_inexact 0
		.amdhsa_exception_int_div_zero 0
	.end_amdhsa_kernel
	.text
.Lfunc_end0:
	.size	bluestein_single_fwd_len4050_dim1_dp_op_CI_CI, .Lfunc_end0-bluestein_single_fwd_len4050_dim1_dp_op_CI_CI
                                        ; -- End function
	.section	.AMDGPU.csdata,"",@progbits
; Kernel info:
; codeLenInByte = 48276
; NumSgprs: 44
; NumVgprs: 256
; NumAgprs: 256
; TotalNumVgprs: 512
; ScratchSize: 888
; MemoryBound: 0
; FloatMode: 240
; IeeeMode: 1
; LDSByteSize: 64800 bytes/workgroup (compile time only)
; SGPRBlocks: 5
; VGPRBlocks: 63
; NumSGPRsForWavesPerEU: 44
; NumVGPRsForWavesPerEU: 512
; AccumOffset: 256
; Occupancy: 1
; WaveLimiterHint : 1
; COMPUTE_PGM_RSRC2:SCRATCH_EN: 1
; COMPUTE_PGM_RSRC2:USER_SGPR: 6
; COMPUTE_PGM_RSRC2:TRAP_HANDLER: 0
; COMPUTE_PGM_RSRC2:TGID_X_EN: 1
; COMPUTE_PGM_RSRC2:TGID_Y_EN: 0
; COMPUTE_PGM_RSRC2:TGID_Z_EN: 0
; COMPUTE_PGM_RSRC2:TIDIG_COMP_CNT: 0
; COMPUTE_PGM_RSRC3_GFX90A:ACCUM_OFFSET: 63
; COMPUTE_PGM_RSRC3_GFX90A:TG_SPLIT: 0
	.text
	.p2alignl 6, 3212836864
	.fill 256, 4, 3212836864
	.type	__hip_cuid_338d46887958965b,@object ; @__hip_cuid_338d46887958965b
	.section	.bss,"aw",@nobits
	.globl	__hip_cuid_338d46887958965b
__hip_cuid_338d46887958965b:
	.byte	0                               ; 0x0
	.size	__hip_cuid_338d46887958965b, 1

	.ident	"AMD clang version 19.0.0git (https://github.com/RadeonOpenCompute/llvm-project roc-6.4.0 25133 c7fe45cf4b819c5991fe208aaa96edf142730f1d)"
	.section	".note.GNU-stack","",@progbits
	.addrsig
	.addrsig_sym __hip_cuid_338d46887958965b
	.amdgpu_metadata
---
amdhsa.kernels:
  - .agpr_count:     256
    .args:
      - .actual_access:  read_only
        .address_space:  global
        .offset:         0
        .size:           8
        .value_kind:     global_buffer
      - .actual_access:  read_only
        .address_space:  global
        .offset:         8
        .size:           8
        .value_kind:     global_buffer
      - .actual_access:  read_only
        .address_space:  global
        .offset:         16
        .size:           8
        .value_kind:     global_buffer
      - .actual_access:  read_only
        .address_space:  global
        .offset:         24
        .size:           8
        .value_kind:     global_buffer
      - .actual_access:  read_only
        .address_space:  global
        .offset:         32
        .size:           8
        .value_kind:     global_buffer
      - .offset:         40
        .size:           8
        .value_kind:     by_value
      - .address_space:  global
        .offset:         48
        .size:           8
        .value_kind:     global_buffer
      - .address_space:  global
        .offset:         56
        .size:           8
        .value_kind:     global_buffer
      - .address_space:  global
        .offset:         64
        .size:           8
        .value_kind:     global_buffer
      - .address_space:  global
        .offset:         72
        .size:           8
        .value_kind:     global_buffer
      - .offset:         80
        .size:           4
        .value_kind:     by_value
      - .address_space:  global
        .offset:         88
        .size:           8
        .value_kind:     global_buffer
      - .address_space:  global
        .offset:         96
        .size:           8
        .value_kind:     global_buffer
    .group_segment_fixed_size: 64800
    .kernarg_segment_align: 8
    .kernarg_segment_size: 104
    .language:       OpenCL C
    .language_version:
      - 2
      - 0
    .max_flat_workgroup_size: 135
    .name:           bluestein_single_fwd_len4050_dim1_dp_op_CI_CI
    .private_segment_fixed_size: 888
    .sgpr_count:     44
    .sgpr_spill_count: 0
    .symbol:         bluestein_single_fwd_len4050_dim1_dp_op_CI_CI.kd
    .uniform_work_group_size: 1
    .uses_dynamic_stack: false
    .vgpr_count:     512
    .vgpr_spill_count: 221
    .wavefront_size: 64
amdhsa.target:   amdgcn-amd-amdhsa--gfx90a
amdhsa.version:
  - 1
  - 2
...

	.end_amdgpu_metadata
